;; amdgpu-corpus repo=ROCm/rocFFT kind=compiled arch=gfx1201 opt=O3
	.text
	.amdgcn_target "amdgcn-amd-amdhsa--gfx1201"
	.amdhsa_code_object_version 6
	.protected	fft_rtc_back_len1859_factors_13_11_13_wgs_169_tpt_169_halfLds_half_ip_CI_unitstride_sbrr_dirReg ; -- Begin function fft_rtc_back_len1859_factors_13_11_13_wgs_169_tpt_169_halfLds_half_ip_CI_unitstride_sbrr_dirReg
	.globl	fft_rtc_back_len1859_factors_13_11_13_wgs_169_tpt_169_halfLds_half_ip_CI_unitstride_sbrr_dirReg
	.p2align	8
	.type	fft_rtc_back_len1859_factors_13_11_13_wgs_169_tpt_169_halfLds_half_ip_CI_unitstride_sbrr_dirReg,@function
fft_rtc_back_len1859_factors_13_11_13_wgs_169_tpt_169_halfLds_half_ip_CI_unitstride_sbrr_dirReg: ; @fft_rtc_back_len1859_factors_13_11_13_wgs_169_tpt_169_halfLds_half_ip_CI_unitstride_sbrr_dirReg
; %bb.0:
	s_clause 0x2
	s_load_b128 s[4:7], s[0:1], 0x0
	s_load_b64 s[8:9], s[0:1], 0x50
	s_load_b64 s[10:11], s[0:1], 0x18
	v_mul_u32_u24_e32 v1, 0x184, v0
	v_mov_b32_e32 v3, 0
	s_delay_alu instid0(VALU_DEP_2) | instskip(NEXT) | instid1(VALU_DEP_1)
	v_lshrrev_b32_e32 v1, 16, v1
	v_add_nc_u32_e32 v5, ttmp9, v1
	v_mov_b32_e32 v1, 0
	v_mov_b32_e32 v2, 0
	;; [unrolled: 1-line block ×3, first 2 shown]
	s_wait_kmcnt 0x0
	v_cmp_lt_u64_e64 s2, s[6:7], 2
	s_delay_alu instid0(VALU_DEP_1)
	s_and_b32 vcc_lo, exec_lo, s2
	s_cbranch_vccnz .LBB0_8
; %bb.1:
	s_load_b64 s[2:3], s[0:1], 0x10
	v_mov_b32_e32 v1, 0
	v_mov_b32_e32 v2, 0
	s_add_nc_u64 s[12:13], s[10:11], 8
	s_mov_b64 s[14:15], 1
	s_wait_kmcnt 0x0
	s_add_nc_u64 s[16:17], s[2:3], 8
	s_mov_b32 s3, 0
.LBB0_2:                                ; =>This Inner Loop Header: Depth=1
	s_load_b64 s[18:19], s[16:17], 0x0
                                        ; implicit-def: $vgpr7_vgpr8
	s_mov_b32 s2, exec_lo
	s_wait_kmcnt 0x0
	v_or_b32_e32 v4, s19, v6
	s_delay_alu instid0(VALU_DEP_1)
	v_cmpx_ne_u64_e32 0, v[3:4]
	s_wait_alu 0xfffe
	s_xor_b32 s20, exec_lo, s2
	s_cbranch_execz .LBB0_4
; %bb.3:                                ;   in Loop: Header=BB0_2 Depth=1
	s_cvt_f32_u32 s2, s18
	s_cvt_f32_u32 s21, s19
	s_sub_nc_u64 s[24:25], 0, s[18:19]
	s_wait_alu 0xfffe
	s_delay_alu instid0(SALU_CYCLE_1) | instskip(SKIP_1) | instid1(SALU_CYCLE_2)
	s_fmamk_f32 s2, s21, 0x4f800000, s2
	s_wait_alu 0xfffe
	v_s_rcp_f32 s2, s2
	s_delay_alu instid0(TRANS32_DEP_1) | instskip(SKIP_1) | instid1(SALU_CYCLE_2)
	s_mul_f32 s2, s2, 0x5f7ffffc
	s_wait_alu 0xfffe
	s_mul_f32 s21, s2, 0x2f800000
	s_wait_alu 0xfffe
	s_delay_alu instid0(SALU_CYCLE_2) | instskip(SKIP_1) | instid1(SALU_CYCLE_2)
	s_trunc_f32 s21, s21
	s_wait_alu 0xfffe
	s_fmamk_f32 s2, s21, 0xcf800000, s2
	s_cvt_u32_f32 s23, s21
	s_wait_alu 0xfffe
	s_delay_alu instid0(SALU_CYCLE_1) | instskip(SKIP_1) | instid1(SALU_CYCLE_2)
	s_cvt_u32_f32 s22, s2
	s_wait_alu 0xfffe
	s_mul_u64 s[26:27], s[24:25], s[22:23]
	s_wait_alu 0xfffe
	s_mul_hi_u32 s29, s22, s27
	s_mul_i32 s28, s22, s27
	s_mul_hi_u32 s2, s22, s26
	s_mul_i32 s30, s23, s26
	s_wait_alu 0xfffe
	s_add_nc_u64 s[28:29], s[2:3], s[28:29]
	s_mul_hi_u32 s21, s23, s26
	s_mul_hi_u32 s31, s23, s27
	s_add_co_u32 s2, s28, s30
	s_wait_alu 0xfffe
	s_add_co_ci_u32 s2, s29, s21
	s_mul_i32 s26, s23, s27
	s_add_co_ci_u32 s27, s31, 0
	s_wait_alu 0xfffe
	s_add_nc_u64 s[26:27], s[2:3], s[26:27]
	s_wait_alu 0xfffe
	v_add_co_u32 v4, s2, s22, s26
	s_delay_alu instid0(VALU_DEP_1) | instskip(SKIP_1) | instid1(VALU_DEP_1)
	s_cmp_lg_u32 s2, 0
	s_add_co_ci_u32 s23, s23, s27
	v_readfirstlane_b32 s22, v4
	s_wait_alu 0xfffe
	s_delay_alu instid0(VALU_DEP_1)
	s_mul_u64 s[24:25], s[24:25], s[22:23]
	s_wait_alu 0xfffe
	s_mul_hi_u32 s27, s22, s25
	s_mul_i32 s26, s22, s25
	s_mul_hi_u32 s2, s22, s24
	s_mul_i32 s28, s23, s24
	s_wait_alu 0xfffe
	s_add_nc_u64 s[26:27], s[2:3], s[26:27]
	s_mul_hi_u32 s21, s23, s24
	s_mul_hi_u32 s22, s23, s25
	s_wait_alu 0xfffe
	s_add_co_u32 s2, s26, s28
	s_add_co_ci_u32 s2, s27, s21
	s_mul_i32 s24, s23, s25
	s_add_co_ci_u32 s25, s22, 0
	s_wait_alu 0xfffe
	s_add_nc_u64 s[24:25], s[2:3], s[24:25]
	s_wait_alu 0xfffe
	v_add_co_u32 v4, s2, v4, s24
	s_delay_alu instid0(VALU_DEP_1) | instskip(SKIP_1) | instid1(VALU_DEP_1)
	s_cmp_lg_u32 s2, 0
	s_add_co_ci_u32 s2, s23, s25
	v_mul_hi_u32 v13, v5, v4
	s_wait_alu 0xfffe
	v_mad_co_u64_u32 v[7:8], null, v5, s2, 0
	v_mad_co_u64_u32 v[9:10], null, v6, v4, 0
	;; [unrolled: 1-line block ×3, first 2 shown]
	s_delay_alu instid0(VALU_DEP_3) | instskip(SKIP_1) | instid1(VALU_DEP_4)
	v_add_co_u32 v4, vcc_lo, v13, v7
	s_wait_alu 0xfffd
	v_add_co_ci_u32_e32 v7, vcc_lo, 0, v8, vcc_lo
	s_delay_alu instid0(VALU_DEP_2) | instskip(SKIP_1) | instid1(VALU_DEP_2)
	v_add_co_u32 v4, vcc_lo, v4, v9
	s_wait_alu 0xfffd
	v_add_co_ci_u32_e32 v4, vcc_lo, v7, v10, vcc_lo
	s_wait_alu 0xfffd
	v_add_co_ci_u32_e32 v7, vcc_lo, 0, v12, vcc_lo
	s_delay_alu instid0(VALU_DEP_2) | instskip(SKIP_1) | instid1(VALU_DEP_2)
	v_add_co_u32 v4, vcc_lo, v4, v11
	s_wait_alu 0xfffd
	v_add_co_ci_u32_e32 v9, vcc_lo, 0, v7, vcc_lo
	s_delay_alu instid0(VALU_DEP_2) | instskip(SKIP_1) | instid1(VALU_DEP_3)
	v_mul_lo_u32 v10, s19, v4
	v_mad_co_u64_u32 v[7:8], null, s18, v4, 0
	v_mul_lo_u32 v11, s18, v9
	s_delay_alu instid0(VALU_DEP_2) | instskip(NEXT) | instid1(VALU_DEP_2)
	v_sub_co_u32 v7, vcc_lo, v5, v7
	v_add3_u32 v8, v8, v11, v10
	s_delay_alu instid0(VALU_DEP_1) | instskip(SKIP_1) | instid1(VALU_DEP_1)
	v_sub_nc_u32_e32 v10, v6, v8
	s_wait_alu 0xfffd
	v_subrev_co_ci_u32_e64 v10, s2, s19, v10, vcc_lo
	v_add_co_u32 v11, s2, v4, 2
	s_wait_alu 0xf1ff
	v_add_co_ci_u32_e64 v12, s2, 0, v9, s2
	v_sub_co_u32 v13, s2, v7, s18
	v_sub_co_ci_u32_e32 v8, vcc_lo, v6, v8, vcc_lo
	s_wait_alu 0xf1ff
	v_subrev_co_ci_u32_e64 v10, s2, 0, v10, s2
	s_delay_alu instid0(VALU_DEP_3) | instskip(NEXT) | instid1(VALU_DEP_3)
	v_cmp_le_u32_e32 vcc_lo, s18, v13
	v_cmp_eq_u32_e64 s2, s19, v8
	s_wait_alu 0xfffd
	v_cndmask_b32_e64 v13, 0, -1, vcc_lo
	v_cmp_le_u32_e32 vcc_lo, s19, v10
	s_wait_alu 0xfffd
	v_cndmask_b32_e64 v14, 0, -1, vcc_lo
	v_cmp_le_u32_e32 vcc_lo, s18, v7
	;; [unrolled: 3-line block ×3, first 2 shown]
	s_wait_alu 0xfffd
	v_cndmask_b32_e64 v15, 0, -1, vcc_lo
	v_cmp_eq_u32_e32 vcc_lo, s19, v10
	s_wait_alu 0xf1ff
	s_delay_alu instid0(VALU_DEP_2)
	v_cndmask_b32_e64 v7, v15, v7, s2
	s_wait_alu 0xfffd
	v_cndmask_b32_e32 v10, v14, v13, vcc_lo
	v_add_co_u32 v13, vcc_lo, v4, 1
	s_wait_alu 0xfffd
	v_add_co_ci_u32_e32 v14, vcc_lo, 0, v9, vcc_lo
	s_delay_alu instid0(VALU_DEP_3) | instskip(SKIP_2) | instid1(VALU_DEP_3)
	v_cmp_ne_u32_e32 vcc_lo, 0, v10
	s_wait_alu 0xfffd
	v_cndmask_b32_e32 v10, v13, v11, vcc_lo
	v_cndmask_b32_e32 v8, v14, v12, vcc_lo
	v_cmp_ne_u32_e32 vcc_lo, 0, v7
	s_wait_alu 0xfffd
	s_delay_alu instid0(VALU_DEP_2)
	v_dual_cndmask_b32 v7, v4, v10 :: v_dual_cndmask_b32 v8, v9, v8
.LBB0_4:                                ;   in Loop: Header=BB0_2 Depth=1
	s_wait_alu 0xfffe
	s_and_not1_saveexec_b32 s2, s20
	s_cbranch_execz .LBB0_6
; %bb.5:                                ;   in Loop: Header=BB0_2 Depth=1
	v_cvt_f32_u32_e32 v4, s18
	s_sub_co_i32 s20, 0, s18
	s_delay_alu instid0(VALU_DEP_1) | instskip(NEXT) | instid1(TRANS32_DEP_1)
	v_rcp_iflag_f32_e32 v4, v4
	v_mul_f32_e32 v4, 0x4f7ffffe, v4
	s_delay_alu instid0(VALU_DEP_1) | instskip(SKIP_1) | instid1(VALU_DEP_1)
	v_cvt_u32_f32_e32 v4, v4
	s_wait_alu 0xfffe
	v_mul_lo_u32 v7, s20, v4
	s_delay_alu instid0(VALU_DEP_1) | instskip(NEXT) | instid1(VALU_DEP_1)
	v_mul_hi_u32 v7, v4, v7
	v_add_nc_u32_e32 v4, v4, v7
	s_delay_alu instid0(VALU_DEP_1) | instskip(NEXT) | instid1(VALU_DEP_1)
	v_mul_hi_u32 v4, v5, v4
	v_mul_lo_u32 v7, v4, s18
	v_add_nc_u32_e32 v8, 1, v4
	s_delay_alu instid0(VALU_DEP_2) | instskip(NEXT) | instid1(VALU_DEP_1)
	v_sub_nc_u32_e32 v7, v5, v7
	v_subrev_nc_u32_e32 v9, s18, v7
	v_cmp_le_u32_e32 vcc_lo, s18, v7
	s_wait_alu 0xfffd
	s_delay_alu instid0(VALU_DEP_2) | instskip(NEXT) | instid1(VALU_DEP_1)
	v_dual_cndmask_b32 v7, v7, v9 :: v_dual_cndmask_b32 v4, v4, v8
	v_cmp_le_u32_e32 vcc_lo, s18, v7
	s_delay_alu instid0(VALU_DEP_2) | instskip(SKIP_1) | instid1(VALU_DEP_1)
	v_add_nc_u32_e32 v8, 1, v4
	s_wait_alu 0xfffd
	v_dual_cndmask_b32 v7, v4, v8 :: v_dual_mov_b32 v8, v3
.LBB0_6:                                ;   in Loop: Header=BB0_2 Depth=1
	s_wait_alu 0xfffe
	s_or_b32 exec_lo, exec_lo, s2
	s_load_b64 s[20:21], s[12:13], 0x0
	s_delay_alu instid0(VALU_DEP_1)
	v_mul_lo_u32 v4, v8, s18
	v_mul_lo_u32 v11, v7, s19
	v_mad_co_u64_u32 v[9:10], null, v7, s18, 0
	s_add_nc_u64 s[14:15], s[14:15], 1
	s_add_nc_u64 s[12:13], s[12:13], 8
	s_wait_alu 0xfffe
	v_cmp_ge_u64_e64 s2, s[14:15], s[6:7]
	s_add_nc_u64 s[16:17], s[16:17], 8
	s_delay_alu instid0(VALU_DEP_2) | instskip(NEXT) | instid1(VALU_DEP_3)
	v_add3_u32 v4, v10, v11, v4
	v_sub_co_u32 v5, vcc_lo, v5, v9
	s_wait_alu 0xfffd
	s_delay_alu instid0(VALU_DEP_2) | instskip(SKIP_3) | instid1(VALU_DEP_2)
	v_sub_co_ci_u32_e32 v4, vcc_lo, v6, v4, vcc_lo
	s_and_b32 vcc_lo, exec_lo, s2
	s_wait_kmcnt 0x0
	v_mul_lo_u32 v6, s21, v5
	v_mul_lo_u32 v4, s20, v4
	v_mad_co_u64_u32 v[1:2], null, s20, v5, v[1:2]
	s_delay_alu instid0(VALU_DEP_1)
	v_add3_u32 v2, v6, v2, v4
	s_wait_alu 0xfffe
	s_cbranch_vccnz .LBB0_9
; %bb.7:                                ;   in Loop: Header=BB0_2 Depth=1
	v_dual_mov_b32 v5, v7 :: v_dual_mov_b32 v6, v8
	s_branch .LBB0_2
.LBB0_8:
	v_dual_mov_b32 v8, v6 :: v_dual_mov_b32 v7, v5
.LBB0_9:
	s_lshl_b64 s[2:3], s[6:7], 3
	v_mul_hi_u32 v3, 0x183c978, v0
	s_wait_alu 0xfffe
	s_add_nc_u64 s[2:3], s[10:11], s[2:3]
	v_dual_mov_b32 v15, 0 :: v_dual_mov_b32 v26, 0
	s_load_b64 s[2:3], s[2:3], 0x0
	s_load_b64 s[0:1], s[0:1], 0x20
                                        ; implicit-def: $vgpr20
                                        ; implicit-def: $vgpr19
                                        ; implicit-def: $vgpr21
                                        ; implicit-def: $vgpr18
                                        ; implicit-def: $vgpr17
                                        ; implicit-def: $vgpr22
                                        ; implicit-def: $vgpr16
                                        ; implicit-def: $vgpr23
                                        ; implicit-def: $vgpr14
                                        ; implicit-def: $vgpr24
                                        ; implicit-def: $vgpr30
                                        ; implicit-def: $vgpr9
                                        ; implicit-def: $vgpr29
                                        ; implicit-def: $vgpr10
                                        ; implicit-def: $vgpr28
                                        ; implicit-def: $vgpr11
                                        ; implicit-def: $vgpr27
                                        ; implicit-def: $vgpr12
                                        ; implicit-def: $vgpr25
                                        ; implicit-def: $vgpr13
	s_delay_alu instid0(VALU_DEP_2) | instskip(NEXT) | instid1(VALU_DEP_1)
	v_mul_u32_u24_e32 v3, 0xa9, v3
	v_sub_nc_u32_e32 v3, v0, v3
	s_delay_alu instid0(VALU_DEP_1)
	v_cmp_gt_u32_e32 vcc_lo, 0x8f, v3
	s_wait_kmcnt 0x0
	v_mul_lo_u32 v4, s2, v8
	v_mul_lo_u32 v5, s3, v7
	v_mad_co_u64_u32 v[1:2], null, s2, v7, v[1:2]
	v_cmp_gt_u64_e64 s0, s[0:1], v[7:8]
                                        ; implicit-def: $vgpr8
                                        ; implicit-def: $vgpr7
	s_delay_alu instid0(VALU_DEP_1) | instskip(NEXT) | instid1(VALU_DEP_2)
	s_and_b32 s1, s0, vcc_lo
	v_add3_u32 v2, v5, v2, v4
                                        ; implicit-def: $vgpr4
	s_delay_alu instid0(VALU_DEP_1)
	v_lshlrev_b64_e32 v[5:6], 2, v[1:2]
	s_wait_alu 0xfffe
	s_and_saveexec_b32 s2, s1
	s_cbranch_execz .LBB0_11
; %bb.10:
	v_mov_b32_e32 v4, 0
	s_delay_alu instid0(VALU_DEP_2) | instskip(NEXT) | instid1(VALU_DEP_2)
	v_add_co_u32 v2, s0, s8, v5
	v_lshlrev_b64_e32 v[0:1], 2, v[3:4]
	s_wait_alu 0xf1ff
	v_add_co_ci_u32_e64 v4, s0, s9, v6, s0
	s_delay_alu instid0(VALU_DEP_2) | instskip(SKIP_1) | instid1(VALU_DEP_2)
	v_add_co_u32 v0, s0, v2, v0
	s_wait_alu 0xf1ff
	v_add_co_ci_u32_e64 v1, s0, v4, v1, s0
	s_clause 0xc
	global_load_b32 v2, v[0:1], off
	global_load_b32 v8, v[0:1], off offset:572
	global_load_b32 v21, v[0:1], off offset:1144
	;; [unrolled: 1-line block ×12, first 2 shown]
	s_wait_loadcnt 0xc
	v_lshrrev_b32_e32 v15, 16, v2
	s_wait_loadcnt 0xb
	v_lshrrev_b32_e32 v20, 16, v8
	;; [unrolled: 2-line block ×13, first 2 shown]
	v_perm_b32 v26, v2, v26, 0x5040100
.LBB0_11:
	s_wait_alu 0xfffe
	s_or_b32 exec_lo, exec_lo, s2
	s_delay_alu instid0(VALU_DEP_2)
	v_sub_f16_e32 v35, v20, v4
	v_add_f16_e32 v37, v8, v30
	v_sub_f16_e32 v36, v19, v9
	v_add_f16_e32 v39, v21, v29
	v_sub_f16_e32 v38, v18, v10
	v_pk_mul_f16 v34, 0xb770ba95, v35 op_sel_hi:[1,0]
	v_add_f16_e32 v41, v7, v28
	v_pk_mul_f16 v33, 0xba95bb7b, v36 op_sel_hi:[1,0]
	v_sub_f16_e32 v40, v17, v11
	v_pk_mul_f16 v32, 0xbbf1b3a8, v38 op_sel_hi:[1,0]
	v_pk_fma_f16 v0, 0x3b15388b, v37, v34 op_sel_hi:[1,0,1] neg_lo:[0,0,1] neg_hi:[0,0,1]
	v_add_f16_e32 v43, v22, v27
	v_pk_fma_f16 v1, 0x388bb5ac, v39, v33 op_sel_hi:[1,0,1] neg_lo:[0,0,1] neg_hi:[0,0,1]
	v_sub_f16_e32 v42, v16, v12
	v_pk_mul_f16 v31, 0xbb7b394e, v40 op_sel_hi:[1,0]
	v_pk_add_f16 v0, v26, v0 op_sel:[1,0]
	v_pk_fma_f16 v2, 0x2fb7bbc4, v41, v32 op_sel_hi:[1,0,1] neg_lo:[0,0,1] neg_hi:[0,0,1]
	v_add_f16_e32 v44, v23, v25
	v_sub_f16_e32 v45, v14, v13
	v_pk_fma_f16 v47, 0xb5acb9fd, v43, v31 op_sel_hi:[1,0,1] neg_lo:[0,0,1] neg_hi:[0,0,1]
	v_pk_add_f16 v0, v0, v1
	v_pk_mul_f16 v1, 0xb94e3bf1, v42 op_sel_hi:[1,0]
	v_add_f16_e32 v46, v24, v26
	s_delay_alu instid0(VALU_DEP_3) | instskip(NEXT) | instid1(VALU_DEP_3)
	v_pk_add_f16 v0, v0, v2
	v_pk_fma_f16 v2, 0xb9fd2fb7, v44, v1 op_sel_hi:[1,0,1] neg_lo:[0,0,1] neg_hi:[0,0,1]
	s_delay_alu instid0(VALU_DEP_2) | instskip(SKIP_1) | instid1(VALU_DEP_2)
	v_pk_add_f16 v47, v0, v47
	v_pk_mul_f16 v0, 0xb3a83770, v45 op_sel_hi:[1,0]
	v_pk_add_f16 v2, v47, v2
	s_delay_alu instid0(VALU_DEP_2) | instskip(NEXT) | instid1(VALU_DEP_1)
	v_pk_fma_f16 v47, 0xbbc43b15, v46, v0 op_sel_hi:[1,0,1] neg_lo:[0,0,1] neg_hi:[0,0,1]
	v_pk_add_f16 v2, v2, v47
	s_and_saveexec_b32 s0, vcc_lo
	s_cbranch_execz .LBB0_13
; %bb.12:
	v_mul_f16_e32 v50, 0xbbc4, v37
	v_lshrrev_b32_e32 v54, 16, v26
	v_mul_f16_e32 v56, 0x3b15, v39
	v_mul_f16_e32 v61, 0xb9fd, v41
	v_pack_b32_f16 v47, v37, v37
	v_fmamk_f16 v55, v35, 0xb3a8, v50
	v_pk_mul_f16 v48, 0x3b15388b, v37 op_sel_hi:[1,0]
	v_fmamk_f16 v60, v36, 0x3770, v56
	v_pack_b32_f16 v49, v35, v35
	v_mul_f16_e32 v65, 0x388b, v43
	v_add_f16_e32 v55, v54, v55
	v_add_f16_e32 v54, v54, v8
	v_mul_f16_e32 v75, 0xb3a8, v35
	v_mul_f16_e32 v37, 0x2fb7, v37
	;; [unrolled: 1-line block ×3, first 2 shown]
	v_add_f16_e32 v55, v55, v60
	v_add_f16_e32 v54, v54, v21
	v_fmamk_f16 v60, v38, 0xb94e, v61
	v_pack_b32_f16 v52, v39, v39
	v_pk_mul_f16 v53, 0x388bb5ac, v39 op_sel_hi:[1,0]
	v_pack_b32_f16 v57, v36, v36
	v_add_f16_e32 v54, v54, v7
	v_add_f16_e32 v55, v55, v60
	v_fmamk_f16 v60, v40, 0x3a95, v65
	v_mul_f16_e32 v69, 0xb5ac, v44
	v_mul_f16_e32 v76, 0x3770, v36
	v_add_f16_e32 v54, v54, v22
	v_mul_f16_e32 v39, 0xbbc4, v39
	v_mul_f16_e32 v36, 0xb3a8, v36
	v_bfi_b32 v86, 0xffff, v24, v48
	v_perm_b32 v48, v37, v48, 0x5040100
	v_add_f16_e32 v54, v54, v23
	v_perm_b32 v51, v26, v26, 0x7060302
	v_pack_b32_f16 v58, v41, v41
	v_pk_mul_f16 v59, 0x2fb7bbc4, v41 op_sel_hi:[1,0]
	v_pack_b32_f16 v62, v38, v38
	v_bfi_b32 v54, 0xffff, v54, v34
	v_perm_b32 v34, v35, v34, 0x5040100
	v_add_f16_e32 v55, v55, v60
	v_fmamk_f16 v60, v42, 0xbb7b, v69
	v_mul_f16_e32 v73, 0x2fb7, v46
	v_mul_f16_e32 v77, 0xb94e, v38
	;; [unrolled: 1-line block ×4, first 2 shown]
	v_pk_add_f16 v87, v33, v53
	v_pk_add_f16 v54, v54, v86
	;; [unrolled: 1-line block ×3, first 2 shown]
	v_perm_b32 v33, v36, v33, 0x5040100
	v_perm_b32 v48, v39, v53, 0x5040100
	v_pack_b32_f16 v63, v43, v43
	v_pk_mul_f16 v64, 0xb5acb9fd, v43 op_sel_hi:[1,0]
	v_pack_b32_f16 v66, v40, v40
	v_add_f16_e32 v55, v55, v60
	v_fmamk_f16 v60, v45, 0x3bf1, v73
	v_mul_f16_e32 v78, 0x3a95, v40
	v_pk_mul_f16 v47, 0xb9fdb5ac, v47
	v_mul_f16_e32 v43, 0x3b15, v43
	v_mul_f16_e32 v40, 0x3770, v40
	v_pk_add_f16 v88, v32, v59
	v_pk_add_f16 v54, v54, v26
	v_bfi_b32 v87, 0xffff, v25, v87
	v_pk_add_f16 v34, v51, v34
	v_pk_add_f16 v33, v33, v48
	v_perm_b32 v32, v38, v32, 0x5040100
	v_perm_b32 v48, v41, v59, 0x5040100
	v_pack_b32_f16 v67, v44, v44
	v_pk_mul_f16 v68, 0xb9fd2fb7, v44 op_sel_hi:[1,0]
	v_pack_b32_f16 v70, v42, v42
	v_mul_f16_e32 v79, 0xbb7b, v42
	v_add_f16_e32 v55, v55, v60
	v_pk_mul_f16 v60, 0xb94ebb7b, v49
	v_pk_mul_f16 v52, 0x2fb7b9fd, v52
	v_mul_f16_e32 v44, 0x388b, v44
	v_mul_f16_e32 v42, 0xba95, v42
	v_pk_add_f16 v86, v31, v64
	v_pk_add_f16 v54, v87, v54
	v_bfi_b32 v87, 0xffff, v27, v88
	v_pk_add_f16 v33, v34, v33
	v_pk_add_f16 v32, v32, v48
	v_perm_b32 v31, v40, v31, 0x5040100
	v_perm_b32 v34, v43, v64, 0x5040100
	v_pk_fma_f16 v49, 0xb94ebb7b, v49, v47
	v_pk_mul_f16 v58, 0x388b3b15, v58
	v_pk_add_f16 v89, v1, v68
	v_pk_add_f16 v54, v87, v54
	v_bfi_b32 v86, 0xffff, v28, v86
	v_pk_add_f16 v32, v33, v32
	v_pk_add_f16 v31, v31, v34
	v_perm_b32 v1, v42, v1, 0x5040100
	v_perm_b32 v33, v44, v68, 0x5040100
	v_pk_add_f16 v34, v51, v49
	v_pk_fma_f16 v49, 0x3bf1394e, v57, v52
	v_pk_mul_f16 v81, 0x3bf1394e, v57
	v_pk_mul_f16 v63, 0xbbc42fb7, v63
	v_pk_add_f16 v48, v86, v54
	v_bfi_b32 v54, 0xffff, v29, v89
	v_pk_add_f16 v31, v32, v31
	v_pk_add_f16 v1, v1, v33
	;; [unrolled: 1-line block ×3, first 2 shown]
	v_pk_fma_f16 v33, 0xba953770, v62, v58
	v_bfi_b32 v34, 0xffff, v50, v47
	v_bfi_b32 v49, 0xffff, v75, v60
	v_pk_add_f16 v48, v54, v48
	v_bfi_b32 v54, 0xffff, v76, v81
	v_pk_add_f16 v32, v32, v33
	v_pk_fma_f16 v33, 0x33a8bbf1, v66, v63
	v_pk_add_f16 v34, v34, v49 neg_lo:[0,1] neg_hi:[0,1]
	v_bfi_b32 v49, 0xffff, v56, v52
	v_pk_mul_f16 v82, 0xba953770, v62
	v_pk_add_f16 v1, v31, v1
	v_pk_add_f16 v31, v32, v33
	v_pk_add_f16 v32, v51, v34
	v_pk_add_f16 v33, v49, v54 neg_lo:[0,1] neg_hi:[0,1]
	v_pack_b32_f16 v34, v47, v37
	v_pack_b32_f16 v35, v60, v35
	v_pk_mul_f16 v83, 0x33a8bbf1, v66
	v_pk_mul_f16 v67, 0x3b15bbc4, v67
	v_bfi_b32 v47, 0xffff, v61, v58
	v_bfi_b32 v49, 0xffff, v77, v82
	v_pk_add_f16 v32, v32, v33
	v_pk_add_f16 v33, v34, v35 neg_lo:[0,1] neg_hi:[0,1]
	v_pack_b32_f16 v34, v52, v39
	v_pack_b32_f16 v35, v81, v36
	v_pk_fma_f16 v37, 0x377033a8, v70, v67
	v_pk_add_f16 v36, v47, v49 neg_lo:[0,1] neg_hi:[0,1]
	v_bfi_b32 v39, 0xffff, v65, v63
	v_bfi_b32 v47, 0xffff, v78, v83
	v_pk_add_f16 v33, v51, v33
	v_pk_add_f16 v34, v34, v35 neg_lo:[0,1] neg_hi:[0,1]
	v_pack_b32_f16 v35, v58, v41
	v_pack_b32_f16 v38, v82, v38
	;; [unrolled: 1-line block ×4, first 2 shown]
	v_pk_mul_f16 v84, 0x377033a8, v70
	v_pk_add_f16 v37, v31, v37
	v_pk_add_f16 v31, v32, v36
	v_pk_add_f16 v32, v39, v47 neg_lo:[0,1] neg_hi:[0,1]
	v_pk_add_f16 v33, v33, v34
	v_pk_add_f16 v34, v35, v38 neg_lo:[0,1] neg_hi:[0,1]
	v_pack_b32_f16 v35, v63, v43
	v_pack_b32_f16 v36, v83, v40
	v_pk_mul_f16 v72, 0xbbc43b15, v46 op_sel_hi:[1,0]
	v_mul_f16_e32 v80, 0x3bf1, v45
	v_mul_f16_e32 v46, 0xb9fd, v46
	;; [unrolled: 1-line block ×3, first 2 shown]
	v_pk_mul_f16 v71, 0xb5ac388b, v71
	v_pk_mul_f16 v85, 0xbb7b3a95, v74
	v_pk_add_f16 v31, v31, v32
	v_bfi_b32 v32, 0xffff, v69, v67
	v_bfi_b32 v38, 0xffff, v79, v84
	v_pk_add_f16 v33, v33, v34
	v_pk_add_f16 v34, v35, v36 neg_lo:[0,1] neg_hi:[0,1]
	v_pack_b32_f16 v35, v67, v44
	v_pack_b32_f16 v36, v84, v42
	v_pk_add_f16 v53, v0, v72
	v_perm_b32 v0, v45, v0, 0x5040100
	v_perm_b32 v50, v46, v72, 0x5040100
	v_pk_add_f16 v32, v32, v38 neg_lo:[0,1] neg_hi:[0,1]
	v_bfi_b32 v38, 0xffff, v73, v71
	v_bfi_b32 v39, 0xffff, v80, v85
	v_pk_add_f16 v33, v33, v34
	v_pk_add_f16 v34, v35, v36 neg_lo:[0,1] neg_hi:[0,1]
	v_pack_b32_f16 v35, v71, v46
	v_pack_b32_f16 v36, v85, v45
	v_bfi_b32 v53, 0xffff, v30, v53
	v_pk_add_f16 v0, v0, v50
	v_pk_fma_f16 v40, 0xbb7b3a95, v74, v71
	v_pk_add_f16 v41, v31, v32
	v_pk_add_f16 v38, v38, v39 neg_lo:[0,1] neg_hi:[0,1]
	v_pk_add_f16 v34, v33, v34
	v_pk_add_f16 v35, v35, v36 neg_lo:[0,1] neg_hi:[0,1]
	v_mad_u32_u24 v59, v3, 26, 0
	v_pk_add_f16 v31, v53, v48
	v_pk_add_f16 v32, v1, v0
	;; [unrolled: 1-line block ×5, first 2 shown]
	ds_store_b96 v59, v[31:33]
	ds_store_b16 v59, v55 offset:12
	ds_store_b96 v59, v[0:2] offset:14
.LBB0_13:
	s_wait_alu 0xfffe
	s_or_b32 exec_lo, exec_lo, s0
	v_sub_f16_e32 v38, v8, v30
	v_add_f16_e32 v39, v20, v4
	v_sub_f16_e32 v37, v21, v29
	v_add_f16_e32 v36, v19, v9
	v_sub_f16_e32 v43, v7, v28
	v_pk_mul_f16 v0, 0xb770ba95, v38 op_sel_hi:[1,0]
	v_add_f16_e32 v34, v18, v10
	v_pk_mul_f16 v32, 0xba95bb7b, v37 op_sel_hi:[1,0]
	v_sub_f16_e32 v40, v22, v27
	v_pk_mul_f16 v33, 0xbbf1b3a8, v43 op_sel_hi:[1,0]
	v_pk_fma_f16 v1, 0x3b15388b, v39, v0 op_sel_hi:[1,0,1]
	v_sub_f16_e32 v45, v23, v25
	v_pk_fma_f16 v7, 0x388bb5ac, v36, v32 op_sel_hi:[1,0,1]
	v_sub_f16_e32 v46, v24, v26
	v_pk_fma_f16 v8, 0x2fb7bbc4, v34, v33 op_sel_hi:[1,0,1]
	v_pk_add_f16 v1, v15, v1 op_sel_hi:[0,1]
	global_wb scope:SCOPE_SE
	s_wait_dscnt 0x0
	s_barrier_signal -1
	s_barrier_wait -1
	global_inv scope:SCOPE_SE
	v_pk_add_f16 v1, v1, v7
	v_lshl_add_u32 v7, v3, 1, 0
	v_add_f16_e32 v42, v17, v11
	v_pk_mul_f16 v35, 0xbb7b394e, v40 op_sel_hi:[1,0]
	v_add_f16_e32 v44, v16, v12
	v_pk_add_f16 v1, v1, v8
	ds_load_u16 v8, v7
	ds_load_u16 v30, v7 offset:338
	ds_load_u16 v29, v7 offset:676
	;; [unrolled: 1-line block ×10, first 2 shown]
	v_pk_mul_f16 v41, 0xb94e3bf1, v45 op_sel_hi:[1,0]
	v_pk_fma_f16 v31, 0xb5acb9fd, v42, v35 op_sel_hi:[1,0,1]
	v_add_f16_e32 v47, v14, v13
	global_wb scope:SCOPE_SE
	s_wait_dscnt 0x0
	s_barrier_signal -1
	v_pk_fma_f16 v48, 0xb9fd2fb7, v44, v41 op_sel_hi:[1,0,1]
	v_pk_add_f16 v1, v1, v31
	v_pk_mul_f16 v31, 0xb3a83770, v46 op_sel_hi:[1,0]
	s_barrier_wait -1
	global_inv scope:SCOPE_SE
	v_pk_add_f16 v1, v1, v48
	v_pk_fma_f16 v48, 0xbbc43b15, v47, v31 op_sel_hi:[1,0,1]
	s_delay_alu instid0(VALU_DEP_1)
	v_pk_add_f16 v1, v1, v48
	s_and_saveexec_b32 s0, vcc_lo
	s_cbranch_execz .LBB0_15
; %bb.14:
	v_add_f16_e32 v20, v15, v20
	v_pack_b32_f16 v48, v39, v39
	v_pk_mul_f16 v39, 0x3b15388b, v39 op_sel_hi:[1,0]
	v_pack_b32_f16 v38, v38, v38
	v_perm_b32 v15, v15, v15, 0x5040100
	v_add_f16_e32 v19, v20, v19
	v_pack_b32_f16 v20, v36, v36
	v_pk_mul_f16 v36, 0x388bb5ac, v36 op_sel_hi:[1,0]
	v_pk_add_f16 v0, v39, v0 neg_lo:[0,1] neg_hi:[0,1]
	v_pack_b32_f16 v37, v37, v37
	v_add_f16_e32 v18, v19, v18
	v_pack_b32_f16 v49, v34, v34
	v_pk_mul_f16 v19, 0x2fb7bbc4, v34 op_sel_hi:[1,0]
	v_pack_b32_f16 v34, v43, v43
	v_pack_b32_f16 v43, v42, v42
	v_add_f16_e32 v17, v18, v17
	v_pk_mul_f16 v42, 0xb5acb9fd, v42 op_sel_hi:[1,0]
	v_pk_add_f16 v0, v15, v0
	v_pk_add_f16 v19, v19, v33 neg_lo:[0,1] neg_hi:[0,1]
	v_pack_b32_f16 v18, v40, v40
	v_add_f16_e32 v16, v17, v16
	v_pk_add_f16 v33, v42, v35 neg_lo:[0,1] neg_hi:[0,1]
	v_pk_mul_f16 v35, 0x394eb3a8, v37
	v_pack_b32_f16 v40, v44, v44
	v_pk_mul_f16 v44, 0xb9fd2fb7, v44 op_sel_hi:[1,0]
	v_add_f16_e32 v14, v16, v14
	v_pk_add_f16 v16, v36, v32 neg_lo:[0,1] neg_hi:[0,1]
	v_pk_mul_f16 v32, 0xbb7bbbf1, v38
	v_pk_fma_f16 v39, 0xb9fdbbc4, v20, v35 neg_lo:[0,0,1] neg_hi:[0,0,1]
	v_pack_b32_f16 v17, v47, v47
	v_add_f16_e32 v13, v14, v13
	v_pk_add_f16 v0, v0, v16
	v_pk_fma_f16 v36, 0xb5ac2fb7, v48, v32 neg_lo:[0,0,1] neg_hi:[0,0,1]
	v_pk_add_f16 v14, v44, v41 neg_lo:[0,1] neg_hi:[0,1]
	v_pk_mul_f16 v47, 0xbbc43b15, v47 op_sel_hi:[1,0]
	v_add_f16_e32 v12, v12, v13
	v_pk_mul_f16 v13, 0x37703b7b, v34
	v_pk_add_f16 v36, v15, v36
	v_pk_add_f16 v0, v0, v19
	v_pk_fma_f16 v32, 0xb5ac2fb7, v48, v32
	v_add_f16_e32 v11, v11, v12
	v_pk_mul_f16 v12, 0xbbf13770, v18
	v_pk_fma_f16 v16, 0x3b15b5ac, v49, v13 neg_lo:[0,0,1] neg_hi:[0,0,1]
	v_pk_add_f16 v36, v36, v39
	v_pk_add_f16 v0, v0, v33
	v_add_f16_e32 v10, v10, v11
	v_pk_fma_f16 v19, 0x2fb73b15, v43, v12 neg_lo:[0,0,1] neg_hi:[0,0,1]
	v_pk_mul_f16 v33, 0x37703bf1, v37
	v_pk_add_f16 v16, v36, v16
	v_pk_add_f16 v0, v0, v14
	v_add_f16_e32 v9, v9, v10
	v_pk_mul_f16 v14, 0xb3a8b94e, v38
	v_pk_mul_f16 v34, 0xb94eba95, v34
	v_pk_add_f16 v16, v16, v19
	v_pk_add_f16 v19, v15, v32
	v_add_f16_e32 v4, v4, v9
	v_pk_add_f16 v9, v47, v31 neg_lo:[0,1] neg_hi:[0,1]
	v_pk_fma_f16 v31, 0xb9fdbbc4, v20, v35
	v_pk_fma_f16 v32, 0xbbc4b9fd, v48, v14 neg_lo:[0,0,1] neg_hi:[0,0,1]
	v_pk_fma_f16 v14, 0xbbc4b9fd, v48, v14
	v_pack_b32_f16 v45, v45, v45
	v_pk_fma_f16 v13, 0x3b15b5ac, v49, v13
	v_pk_add_f16 v19, v19, v31
	v_pk_add_f16 v31, v15, v32
	v_pk_fma_f16 v32, 0x3b152fb7, v20, v33 neg_lo:[0,0,1] neg_hi:[0,0,1]
	v_pk_add_f16 v14, v15, v14
	v_pk_fma_f16 v15, 0x3b152fb7, v20, v33
	v_pk_mul_f16 v18, 0x3a9533a8, v18
	v_pk_mul_f16 v11, 0x33a8ba95, v45
	v_pk_add_f16 v20, v31, v32
	v_pk_fma_f16 v31, 0xb9fd388b, v49, v34 neg_lo:[0,0,1] neg_hi:[0,0,1]
	v_pk_add_f16 v14, v14, v15
	v_pk_fma_f16 v15, 0xb9fd388b, v49, v34
	v_pack_b32_f16 v46, v46, v46
	v_pk_add_f16 v13, v19, v13
	v_pk_fma_f16 v12, 0x2fb73b15, v43, v12
	v_pk_add_f16 v19, v20, v31
	v_pk_fma_f16 v20, 0x388bbbc4, v43, v18 neg_lo:[0,0,1] neg_hi:[0,0,1]
	v_pk_add_f16 v14, v14, v15
	v_pk_fma_f16 v15, 0x388bbbc4, v43, v18
	v_pk_mul_f16 v18, 0xbb7b3770, v45
	v_pk_fma_f16 v10, 0xbbc4388b, v40, v11 neg_lo:[0,0,1] neg_hi:[0,0,1]
	v_pk_add_f16 v12, v13, v12
	v_pk_add_f16 v13, v19, v20
	;; [unrolled: 1-line block ×3, first 2 shown]
	v_pk_fma_f16 v15, 0xb5ac3b15, v40, v18
	v_pk_mul_f16 v19, 0x3bf1bb7b, v46
	v_pk_add_f16 v10, v16, v10
	v_pk_mul_f16 v16, 0x3a95b94e, v46
	v_pk_fma_f16 v11, 0xbbc4388b, v40, v11
	v_pk_fma_f16 v18, 0xb5ac3b15, v40, v18 neg_lo:[0,0,1] neg_hi:[0,0,1]
	v_pk_add_f16 v14, v14, v15
	v_pk_fma_f16 v15, 0x2fb7b5ac, v17, v19
	v_pk_fma_f16 v35, 0x388bb9fd, v17, v16 neg_lo:[0,0,1] neg_hi:[0,0,1]
	v_pk_add_f16 v11, v12, v11
	v_pk_fma_f16 v12, 0x388bb9fd, v17, v16
	v_pk_add_f16 v13, v13, v18
	v_pk_fma_f16 v16, 0x2fb7b5ac, v17, v19 neg_lo:[0,0,1] neg_hi:[0,0,1]
	v_pk_add_f16 v0, v0, v9
	v_pk_add_f16 v14, v14, v15
	;; [unrolled: 1-line block ×5, first 2 shown]
	v_mad_u32_u24 v13, v3, 24, v7
	v_alignbit_b32 v9, v0, v0, 16
	v_alignbit_b32 v12, v14, v14, 16
	;; [unrolled: 1-line block ×3, first 2 shown]
	ds_store_b16 v13, v4
	ds_store_b128 v13, v[9:12] offset:2
	ds_store_b64 v13, v[0:1] offset:18
.LBB0_15:
	s_wait_alu 0xfffe
	s_or_b32 exec_lo, exec_lo, s0
	v_and_b32_e32 v0, 0xff, v3
	global_wb scope:SCOPE_SE
	s_wait_dscnt 0x0
	s_barrier_signal -1
	s_barrier_wait -1
	global_inv scope:SCOPE_SE
	v_mul_lo_u16 v0, 0x4f, v0
	s_delay_alu instid0(VALU_DEP_1) | instskip(NEXT) | instid1(VALU_DEP_1)
	v_lshrrev_b16 v0, 10, v0
	v_mul_lo_u16 v4, v0, 13
	v_and_b32_e32 v0, 0xffff, v0
	s_delay_alu instid0(VALU_DEP_2) | instskip(NEXT) | instid1(VALU_DEP_2)
	v_sub_nc_u16 v4, v3, v4
	v_mul_u32_u24_e32 v0, 0x11e, v0
	s_delay_alu instid0(VALU_DEP_2) | instskip(NEXT) | instid1(VALU_DEP_1)
	v_and_b32_e32 v4, 0xff, v4
	v_mul_u32_u24_e32 v9, 10, v4
	v_lshlrev_b32_e32 v4, 1, v4
	s_delay_alu instid0(VALU_DEP_2) | instskip(NEXT) | instid1(VALU_DEP_2)
	v_lshlrev_b32_e32 v13, 2, v9
	v_add3_u32 v14, 0, v0, v4
	s_clause 0x2
	global_load_b128 v[9:12], v13, s[4:5]
	global_load_b128 v[16:19], v13, s[4:5] offset:16
	global_load_b64 v[40:41], v13, s[4:5] offset:32
	ds_load_u16 v15, v7
	ds_load_u16 v13, v7 offset:338
	ds_load_u16 v42, v7 offset:676
	;; [unrolled: 1-line block ×10, first 2 shown]
	global_wb scope:SCOPE_SE
	s_wait_loadcnt_dscnt 0x0
	s_barrier_signal -1
	s_barrier_wait -1
	global_inv scope:SCOPE_SE
	v_lshrrev_b32_e32 v0, 16, v9
	v_lshrrev_b32_e32 v4, 16, v10
	v_lshrrev_b32_e32 v20, 16, v11
	v_lshrrev_b32_e32 v31, 16, v12
	v_lshrrev_b32_e32 v34, 16, v16
	v_lshrrev_b32_e32 v37, 16, v17
	v_lshrrev_b32_e32 v38, 16, v18
	v_lshrrev_b32_e32 v39, 16, v19
	v_lshrrev_b32_e32 v51, 16, v40
	v_lshrrev_b32_e32 v52, 16, v41
	v_mul_f16_e32 v36, v13, v0
	v_mul_f16_e32 v0, v30, v0
	;; [unrolled: 1-line block ×20, first 2 shown]
	v_fmac_f16_e32 v36, v30, v9
	v_fma_f16 v30, v13, v9, -v0
	v_fmac_f16_e32 v35, v29, v10
	v_fma_f16 v29, v42, v10, -v4
	;; [unrolled: 2-line block ×5, first 2 shown]
	v_fma_f16 v18, v49, v40, -v51
	v_add_f16_e32 v0, v8, v36
	v_fmac_f16_e32 v33, v28, v11
	v_fma_f16 v28, v43, v11, -v53
	v_fmac_f16_e32 v20, v26, v16
	v_fma_f16 v16, v45, v16, -v55
	v_fmac_f16_e32 v31, v25, v17
	v_fma_f16 v17, v46, v17, -v56
	v_fmac_f16_e32 v37, v22, v19
	v_fma_f16 v19, v48, v19, -v58
	v_fmac_f16_e32 v38, v21, v40
	v_add_f16_e32 v9, v36, v39
	v_sub_f16_e32 v10, v30, v4
	v_sub_f16_e32 v12, v29, v18
	;; [unrolled: 1-line block ×3, first 2 shown]
	v_add_f16_e32 v0, v0, v35
	v_add_f16_e32 v11, v35, v38
	;; [unrolled: 1-line block ×3, first 2 shown]
	v_sub_f16_e32 v21, v28, v19
	v_add_f16_e32 v22, v32, v34
	v_sub_f16_e32 v26, v16, v17
	v_mul_f16_e32 v40, 0xbbad, v9
	v_mul_f16_e32 v41, 0xb482, v10
	;; [unrolled: 1-line block ×4, first 2 shown]
	v_pk_mul_f16 v48, 0x36a63abb, v9 op_sel_hi:[1,0]
	v_pk_mul_f16 v49, 0xbb47b853, v10 op_sel_hi:[1,0]
	;; [unrolled: 1-line block ×7, first 2 shown]
	v_add_f16_e32 v0, v0, v33
	v_add_f16_e32 v25, v20, v31
	v_mul_f16_e32 v42, 0x3abb, v11
	v_mul_f16_e32 v44, 0xb93d, v13
	;; [unrolled: 1-line block ×4, first 2 shown]
	v_pk_mul_f16 v50, 0xb93d36a6, v11 op_sel_hi:[1,0]
	v_pk_mul_f16 v52, 0xbbadb08e, v13 op_sel_hi:[1,0]
	;; [unrolled: 1-line block ×7, first 2 shown]
	v_mul_f16_e32 v26, 0xbbeb, v26
	v_fmamk_f16 v60, v9, 0xbbad, v41
	v_fmamk_f16 v63, v22, 0x36a6, v47
	v_pk_fma_f16 v64, 0x36a63abb, v9, v49 op_sel_hi:[1,0,1]
	v_lshrrev_b32_e32 v65, 16, v49
	v_lshrrev_b32_e32 v66, 16, v48
	v_pk_fma_f16 v73, 0xb08eb93d, v22, v55 op_sel_hi:[1,0,1]
	v_pk_fma_f16 v79, 0xb93db08e, v9, v10 op_sel_hi:[1,0,1]
	v_pk_fma_f16 v80, 0xb08ebbad, v11, v12 op_sel_hi:[1,0,1]
	v_pk_fma_f16 v82, 0xbbad3abb, v22, v23 op_sel_hi:[1,0,1]
	v_pk_fma_f16 v9, 0xb93db08e, v9, v10 op_sel_hi:[1,0,1] neg_lo:[0,0,1] neg_hi:[0,0,1]
	v_pk_fma_f16 v10, 0xb08ebbad, v11, v12 op_sel_hi:[1,0,1] neg_lo:[0,0,1] neg_hi:[0,0,1]
	;; [unrolled: 1-line block ×3, first 2 shown]
	v_pack_b32_f16 v22, v40, v48
	v_pack_b32_f16 v23, v41, v49
	v_add_f16_e32 v0, v0, v32
	v_pk_mul_f16 v56, 0x3abbbbad, v25 op_sel_hi:[1,0]
	v_mul_f16_e32 v59, 0xb08e, v25
	v_fmamk_f16 v61, v11, 0x3abb, v43
	v_fmamk_f16 v62, v13, 0xb93d, v45
	v_pk_fma_f16 v67, 0xb93d36a6, v11, v51 op_sel_hi:[1,0,1]
	v_lshrrev_b32_e32 v68, 16, v51
	v_lshrrev_b32_e32 v69, 16, v50
	v_pk_fma_f16 v70, 0xbbadb08e, v13, v53 op_sel_hi:[1,0,1]
	v_pk_fma_f16 v76, 0x3abbbbad, v25, v57 op_sel_hi:[1,0,1]
	;; [unrolled: 1-line block ×4, first 2 shown]
	v_pk_fma_f16 v11, 0x3abb36a6, v13, v21 op_sel_hi:[1,0,1] neg_lo:[0,0,1] neg_hi:[0,0,1]
	v_pk_fma_f16 v13, 0x36a6b93d, v25, v58 op_sel_hi:[1,0,1] neg_lo:[0,0,1] neg_hi:[0,0,1]
	v_fmamk_f16 v21, v25, 0xb08e, v26
	v_pack_b32_f16 v25, v42, v50
	v_pack_b32_f16 v40, v43, v51
	v_pack_b32_f16 v41, v44, v52
	v_pack_b32_f16 v42, v45, v53
	v_pack_b32_f16 v43, v46, v54
	v_add_f16_e32 v46, v8, v60
	v_sub_f16_e32 v48, v66, v65
	v_pk_add_f16 v22, v22, v23 neg_lo:[0,1] neg_hi:[0,1]
	v_add_f16_e32 v0, v0, v20
	v_lshrrev_b32_e32 v71, 16, v53
	v_lshrrev_b32_e32 v72, 16, v52
	v_pack_b32_f16 v44, v47, v55
	v_pk_add_f16 v47, v8, v64 op_sel_hi:[0,1]
	v_sub_f16_e32 v49, v69, v68
	v_pk_add_f16 v53, v8, v79 op_sel_hi:[0,1]
	v_pk_add_f16 v9, v8, v9 op_sel_hi:[0,1]
	v_pk_add_f16 v23, v25, v40 neg_lo:[0,1] neg_hi:[0,1]
	v_pk_add_f16 v25, v41, v42 neg_lo:[0,1] neg_hi:[0,1]
	v_add_f16_e32 v41, v61, v46
	v_add_f16_e32 v42, v8, v48
	v_pk_add_f16 v8, v8, v22 op_sel_hi:[0,1]
	v_add_f16_e32 v0, v0, v31
	v_lshrrev_b32_e32 v74, 16, v55
	v_lshrrev_b32_e32 v75, 16, v54
	v_sub_f16_e32 v50, v72, v71
	v_pk_add_f16 v40, v43, v44 neg_lo:[0,1] neg_hi:[0,1]
	v_pk_add_f16 v43, v67, v47
	v_pk_add_f16 v44, v80, v53
	;; [unrolled: 1-line block ×3, first 2 shown]
	v_add_f16_e32 v10, v62, v41
	v_add_f16_e32 v22, v49, v42
	v_pk_add_f16 v8, v23, v8
	v_add_f16_e32 v0, v0, v34
	v_lshrrev_b32_e32 v77, 16, v57
	v_lshrrev_b32_e32 v78, 16, v56
	v_pack_b32_f16 v45, v59, v56
	v_pack_b32_f16 v26, v26, v57
	v_sub_f16_e32 v51, v75, v74
	v_pk_add_f16 v41, v70, v43
	v_pk_add_f16 v42, v81, v44
	;; [unrolled: 1-line block ×3, first 2 shown]
	v_add_f16_e32 v23, v63, v10
	v_add_f16_e32 v10, v50, v22
	v_pk_add_f16 v8, v25, v8
	v_add_f16_e32 v0, v0, v37
	v_sub_f16_e32 v52, v78, v77
	v_pk_add_f16 v26, v45, v26 neg_lo:[0,1] neg_hi:[0,1]
	v_pk_add_f16 v11, v73, v41
	v_pk_add_f16 v22, v82, v42
	;; [unrolled: 1-line block ×3, first 2 shown]
	v_add_f16_e32 v12, v51, v10
	v_pk_add_f16 v25, v40, v8
	v_add_f16_e32 v0, v0, v38
	v_pk_add_f16 v11, v76, v11
	v_pk_add_f16 v10, v83, v22
	v_pk_add_f16 v8, v13, v9
	v_add_f16_e32 v13, v52, v12
	v_pk_add_f16 v9, v26, v25
	v_add_f16_e32 v0, v0, v39
	v_add_f16_e32 v12, v21, v23
	ds_store_b16 v14, v8 offset:208
	ds_store_b16 v14, v13 offset:234
	ds_store_b16_d16_hi v14, v9 offset:260
	ds_store_b16 v14, v0
	ds_store_b16 v14, v11 offset:26
	ds_store_b16_d16_hi v14, v11 offset:52
	ds_store_b16 v14, v10 offset:78
	ds_store_b16_d16_hi v14, v10 offset:104
	ds_store_b16 v14, v12 offset:130
	ds_store_b16 v14, v9 offset:156
	ds_store_b16_d16_hi v14, v8 offset:182
	global_wb scope:SCOPE_SE
	s_wait_dscnt 0x0
	s_barrier_signal -1
	s_barrier_wait -1
	global_inv scope:SCOPE_SE
	s_and_saveexec_b32 s0, vcc_lo
	s_cbranch_execz .LBB0_17
; %bb.16:
	ds_load_u16 v8, v7 offset:2288
	ds_load_u16 v11, v7 offset:286
	;; [unrolled: 1-line block ×5, first 2 shown]
	ds_load_u16 v0, v7
	ds_load_u16 v12, v7 offset:1430
	s_wait_dscnt 0x6
	ds_load_u16_d16_hi v8, v7 offset:2002
	s_wait_dscnt 0x6
	ds_load_u16_d16_hi v11, v7 offset:572
	;; [unrolled: 2-line block ×3, first 2 shown]
	ds_load_u16 v13, v7 offset:2574
	s_wait_dscnt 0x7
	ds_load_u16_d16_hi v2, v7 offset:3432
	s_wait_dscnt 0x7
	ds_load_u16_d16_hi v9, v7 offset:2860
.LBB0_17:
	s_wait_alu 0xfffe
	s_or_b32 exec_lo, exec_lo, s0
	v_add_f16_e32 v21, v15, v30
	v_add_f16_e32 v22, v30, v4
	v_sub_f16_e32 v23, v36, v39
	v_add_f16_e32 v25, v29, v18
	v_sub_f16_e32 v26, v35, v38
	v_add_f16_e32 v21, v21, v29
	v_add_f16_e32 v29, v28, v19
	v_sub_f16_e32 v32, v32, v34
	v_mul_f16_e32 v34, 0x3abb, v25
	v_pk_mul_f16 v39, 0xbb47b853, v23 op_sel_hi:[1,0]
	v_add_f16_e32 v21, v21, v28
	v_mul_f16_e32 v28, 0xbbad, v22
	v_sub_f16_e32 v30, v33, v37
	v_add_f16_e32 v33, v27, v24
	v_mul_f16_e32 v35, 0xb93d, v29
	v_add_f16_e32 v21, v21, v27
	v_fmamk_f16 v41, v23, 0xb482, v28
	v_pk_mul_f16 v40, 0xba0cbb47, v26 op_sel_hi:[1,0]
	v_fmamk_f16 v44, v26, 0x3853, v34
	v_pk_fma_f16 v46, 0x36a63abb, v22, v39 op_sel_hi:[1,0,1]
	v_add_f16_e32 v21, v21, v16
	v_add_f16_e32 v41, v15, v41
	v_mul_f16_e32 v37, 0x36a6, v33
	v_pk_mul_f16 v42, 0x3482bbeb, v30 op_sel_hi:[1,0]
	v_pk_fma_f16 v39, 0x36a63abb, v22, v39 op_sel_hi:[1,0,1] neg_lo:[0,0,1] neg_hi:[0,0,1]
	v_add_f16_e32 v21, v21, v17
	v_add_f16_e32 v41, v44, v41
	v_pk_add_f16 v44, v15, v46 op_sel_hi:[0,1]
	v_pk_mul_f16 v43, 0x3bebba0c, v32 op_sel_hi:[1,0]
	v_fmamk_f16 v45, v32, 0x3b47, v37
	v_add_f16_e32 v21, v21, v24
	v_fmamk_f16 v24, v30, 0xba0c, v35
	v_pk_add_f16 v39, v15, v39 op_sel_hi:[0,1]
	v_sub_f16_e32 v20, v20, v31
	v_add_f16_e32 v17, v16, v17
	v_add_f16_e32 v19, v21, v19
	v_pk_fma_f16 v21, 0xb93d36a6, v25, v40 op_sel_hi:[1,0,1]
	v_add_f16_e32 v24, v24, v41
	v_pk_mul_f16 v22, 0xb93db08e, v22 op_sel_hi:[1,0]
	v_mul_f16_e32 v31, 0xb482, v23
	v_add_f16_e32 v18, v19, v18
	v_pk_fma_f16 v19, 0xbbadb08e, v29, v42 op_sel_hi:[1,0,1]
	v_pk_add_f16 v21, v21, v44
	v_add_f16_e32 v41, v45, v24
	v_pk_fma_f16 v24, 0xbbadb08e, v29, v42 op_sel_hi:[1,0,1] neg_lo:[0,0,1] neg_hi:[0,0,1]
	v_add_f16_e32 v4, v18, v4
	v_pk_fma_f16 v18, 0xb93d36a6, v25, v40 op_sel_hi:[1,0,1] neg_lo:[0,0,1] neg_hi:[0,0,1]
	v_pk_add_f16 v16, v19, v21
	v_pk_fma_f16 v19, 0xb08eb93d, v33, v43 op_sel_hi:[1,0,1]
	v_pk_mul_f16 v21, 0x3853b482, v20 op_sel_hi:[1,0]
	v_pk_mul_f16 v25, 0xb08ebbad, v25 op_sel_hi:[1,0]
	v_pk_add_f16 v18, v18, v39
	v_pk_mul_f16 v39, 0xba0cbbeb, v23 op_sel_hi:[1,0]
	v_pk_add_f16 v19, v19, v16
	v_pk_mul_f16 v42, 0x3beb3482, v26 op_sel_hi:[1,0]
	v_pk_fma_f16 v40, 0x3abbbbad, v17, v21 op_sel_hi:[1,0,1]
	v_pk_add_f16 v16, v24, v18
	v_pk_fma_f16 v18, 0xb08eb93d, v33, v43 op_sel_hi:[1,0,1] neg_lo:[0,0,1] neg_hi:[0,0,1]
	v_sub_f16_e32 v24, v22, v39
	v_pk_fma_f16 v23, 0xba0cbbeb, v23, v22 op_sel_hi:[1,0,1]
	v_mul_f16_e32 v27, 0x3853, v26
	v_pk_fma_f16 v26, 0x3beb3482, v26, v25 op_sel_hi:[1,0,1]
	v_pk_add_f16 v16, v18, v16
	v_pk_fma_f16 v18, 0x3abbbbad, v17, v21 op_sel_hi:[1,0,1] neg_lo:[0,0,1] neg_hi:[0,0,1]
	v_add_f16_e32 v21, v15, v24
	v_sub_f16_e32 v24, v25, v42
	v_pk_add_f16 v23, v15, v23 op_sel_hi:[0,1]
	v_bfi_b32 v22, 0xffff, v28, v22
	v_pk_add_f16 v16, v18, v16
	v_pk_mul_f16 v18, 0x3abb36a6, v29 op_sel_hi:[1,0]
	v_pk_mul_f16 v29, 0xb8533b47, v30 op_sel_hi:[1,0]
	v_add_f16_e32 v21, v24, v21
	v_bfi_b32 v24, 0xffff, v31, v39
	v_mul_f16_e32 v36, 0xba0c, v30
	v_pk_add_f16 v23, v26, v23
	v_sub_f16_e32 v26, v18, v29
	v_pk_fma_f16 v28, 0xb8533b47, v30, v18 op_sel_hi:[1,0,1]
	v_pk_mul_f16 v30, 0xbbad3abb, v33 op_sel_hi:[1,0]
	v_pk_mul_f16 v31, 0xb482b853, v32 op_sel_hi:[1,0]
	v_pk_add_f16 v22, v22, v24 neg_lo:[0,1] neg_hi:[0,1]
	v_bfi_b32 v24, 0xffff, v34, v25
	v_bfi_b32 v25, 0xffff, v27, v42
	v_mul_f16_e32 v38, 0x3b47, v32
	v_add_f16_e32 v21, v26, v21
	v_sub_f16_e32 v26, v30, v31
	v_pk_add_f16 v15, v15, v22 op_sel_hi:[0,1]
	v_pk_add_f16 v22, v24, v25 neg_lo:[0,1] neg_hi:[0,1]
	v_bfi_b32 v18, 0xffff, v35, v18
	v_bfi_b32 v24, 0xffff, v36, v29
	v_add_f16_e32 v21, v26, v21
	v_pk_mul_f16 v25, 0x36a6b93d, v17 op_sel_hi:[1,0]
	v_pk_mul_f16 v26, 0x3b47ba0c, v20 op_sel_hi:[1,0]
	v_pk_add_f16 v15, v22, v15
	v_pk_add_f16 v18, v18, v24 neg_lo:[0,1] neg_hi:[0,1]
	v_bfi_b32 v22, 0xffff, v37, v30
	v_bfi_b32 v24, 0xffff, v38, v31
	v_mul_f16_e32 v17, 0xb08e, v17
	v_mul_f16_e32 v27, 0xbbeb, v20
	v_pk_add_f16 v23, v28, v23
	v_pk_fma_f16 v28, 0xb482b853, v32, v30 op_sel_hi:[1,0,1]
	v_pk_add_f16 v15, v18, v15
	v_pk_add_f16 v18, v22, v24 neg_lo:[0,1] neg_hi:[0,1]
	v_bfi_b32 v22, 0xffff, v17, v25
	v_bfi_b32 v24, 0xffff, v27, v26
	v_pk_add_f16 v27, v28, v23
	v_sub_f16_e32 v26, v25, v26
	v_pk_fma_f16 v25, 0x3b47ba0c, v20, v25 op_sel_hi:[1,0,1]
	v_pk_add_f16 v18, v18, v15
	v_pk_add_f16 v22, v22, v24 neg_lo:[0,1] neg_hi:[0,1]
	v_fmac_f16_e32 v17, 0xbbeb, v20
	v_pk_add_f16 v23, v40, v19
	v_add_f16_e32 v24, v26, v21
	v_pk_add_f16 v15, v25, v27
	v_pk_add_f16 v26, v22, v18
	v_add_f16_e32 v28, v17, v41
	global_wb scope:SCOPE_SE
	s_wait_dscnt 0x0
	s_barrier_signal -1
	s_barrier_wait -1
	global_inv scope:SCOPE_SE
	ds_store_b16 v14, v4
	ds_store_b16 v14, v16 offset:26
	ds_store_b16_d16_hi v14, v16 offset:52
	ds_store_b16 v14, v24 offset:78
	ds_store_b16_d16_hi v14, v26 offset:104
	ds_store_b16 v14, v26 offset:130
	ds_store_b16 v14, v28 offset:156
	ds_store_b16_d16_hi v14, v15 offset:182
	ds_store_b16 v14, v15 offset:208
	ds_store_b16_d16_hi v14, v23 offset:234
	ds_store_b16 v14, v23 offset:260
	global_wb scope:SCOPE_SE
	s_wait_dscnt 0x0
	s_barrier_signal -1
	s_barrier_wait -1
	global_inv scope:SCOPE_SE
	s_and_saveexec_b32 s0, vcc_lo
	s_cbranch_execnz .LBB0_20
; %bb.18:
	s_wait_alu 0xfffe
	s_or_b32 exec_lo, exec_lo, s0
	s_and_saveexec_b32 s0, s1
	s_cbranch_execnz .LBB0_21
.LBB0_19:
	s_endpgm
.LBB0_20:
	ds_load_u16 v15, v7 offset:2288
	ds_load_u16 v16, v7 offset:286
	;; [unrolled: 1-line block ×5, first 2 shown]
	ds_load_u16 v4, v7
	ds_load_u16 v24, v7 offset:858
	s_wait_dscnt 0x6
	ds_load_u16_d16_hi v15, v7 offset:2002
	s_wait_dscnt 0x6
	ds_load_u16_d16_hi v16, v7 offset:572
	;; [unrolled: 2-line block ×3, first 2 shown]
	ds_load_u16 v28, v7 offset:1716
	s_wait_dscnt 0x7
	ds_load_u16_d16_hi v23, v7 offset:2574
	s_wait_dscnt 0x7
	ds_load_u16_d16_hi v1, v7 offset:3432
	s_wait_alu 0xfffe
	s_or_b32 exec_lo, exec_lo, s0
	s_and_saveexec_b32 s0, s1
	s_cbranch_execz .LBB0_19
.LBB0_21:
	v_mul_u32_u24_e32 v7, 12, v3
	v_lshrrev_b32_e32 v14, 16, v2
	v_lshrrev_b32_e32 v42, 16, v11
	s_wait_dscnt 0x1
	v_lshrrev_b32_e32 v44, 16, v23
	v_lshrrev_b32_e32 v45, 16, v26
	v_lshlrev_b32_e32 v7, 2, v7
	v_lshrrev_b32_e32 v46, 16, v10
	v_lshrrev_b32_e32 v47, 16, v15
	;; [unrolled: 1-line block ×4, first 2 shown]
	s_clause 0x2
	global_load_b128 v[30:33], v7, s[4:5] offset:552
	global_load_b128 v[34:37], v7, s[4:5] offset:520
	;; [unrolled: 1-line block ×3, first 2 shown]
	s_wait_dscnt 0x0
	v_lshrrev_b32_e32 v7, 16, v1
	v_lshrrev_b32_e32 v43, 16, v9
	s_wait_loadcnt 0x2
	v_lshrrev_b32_e32 v17, 16, v33
	s_wait_loadcnt 0x1
	v_lshrrev_b32_e32 v21, 16, v34
	v_lshrrev_b32_e32 v20, 16, v30
	;; [unrolled: 1-line block ×6, first 2 shown]
	s_wait_loadcnt 0x0
	v_lshrrev_b32_e32 v51, 16, v40
	v_lshrrev_b32_e32 v52, 16, v41
	v_mul_f16_e32 v53, v14, v17
	v_mul_f16_e32 v54, v11, v21
	v_lshrrev_b32_e32 v19, 16, v31
	v_lshrrev_b32_e32 v49, 16, v38
	v_mul_f16_e32 v55, v16, v21
	v_mul_f16_e32 v17, v7, v17
	;; [unrolled: 1-line block ×15, first 2 shown]
	v_fma_f16 v20, v7, v33, -v53
	v_fma_f16 v51, v16, v34, -v54
	v_lshrrev_b32_e32 v50, 16, v39
	v_mul_f16_e32 v58, v27, v22
	v_mul_f16_e32 v59, v43, v19
	;; [unrolled: 1-line block ×4, first 2 shown]
	v_fmac_f16_e32 v55, v11, v34
	v_fmac_f16_e32 v17, v14, v33
	v_fma_f16 v22, v1, v32, -v56
	v_fma_f16 v33, v27, v35, -v57
	v_fmac_f16_e32 v18, v2, v32
	v_fma_f16 v32, v24, v36, -v60
	v_fma_f16 v24, v44, v30, -v62
	;; [unrolled: 1-line block ×3, first 2 shown]
	v_fmac_f16_e32 v64, v46, v37
	v_fmac_f16_e32 v21, v13, v30
	v_fma_f16 v27, v15, v41, -v65
	v_fmac_f16_e32 v25, v8, v41
	v_fma_f16 v30, v47, v40, -v52
	v_add_f16_e32 v37, v20, v51
	v_sub_f16_e32 v41, v51, v20
	v_add_f16_e32 v47, v4, v51
	v_mul_f16_e32 v19, v23, v19
	v_mul_f16_e32 v67, v9, v50
	;; [unrolled: 1-line block ×3, first 2 shown]
	v_fmac_f16_e32 v58, v42, v35
	v_fma_f16 v23, v23, v31, -v59
	v_fma_f16 v35, v26, v38, -v66
	v_fmac_f16_e32 v49, v12, v38
	v_fmac_f16_e32 v29, v48, v40
	v_sub_f16_e32 v16, v55, v17
	v_add_f16_e32 v38, v22, v33
	v_add_f16_e32 v14, v17, v55
	v_sub_f16_e32 v42, v33, v22
	v_mul_f16_e32 v48, 0xbbc4, v37
	v_mul_f16_e32 v56, 0xb3a8, v41
	v_add_f16_e32 v33, v47, v33
	v_fmac_f16_e32 v61, v10, v36
	v_fmac_f16_e32 v19, v43, v31
	v_fma_f16 v36, v28, v39, -v67
	v_fmac_f16_e32 v50, v9, v39
	v_sub_f16_e32 v15, v58, v18
	v_add_f16_e32 v39, v23, v32
	v_add_f16_e32 v13, v18, v58
	v_sub_f16_e32 v43, v32, v23
	v_add_f16_e32 v46, v0, v55
	v_mul_f16_e32 v51, 0x3b15, v38
	v_mul_f16_e32 v57, 0x3770, v42
	;; [unrolled: 1-line block ×4, first 2 shown]
	v_fmamk_f16 v47, v16, 0x33a8, v48
	v_fmamk_f16 v82, v14, 0xbbc4, v56
	v_add_f16_e32 v32, v33, v32
	v_add_f16_e32 v40, v24, v34
	v_sub_f16_e32 v44, v34, v24
	v_mul_f16_e32 v66, 0x2fb7, v38
	v_mul_f16_e32 v77, 0xb3a8, v42
	v_mul_f16_e32 v78, 0x388b, v37
	v_add_f16_e32 v46, v46, v58
	v_fmamk_f16 v58, v15, 0xb770, v51
	v_fmamk_f16 v83, v13, 0x3b15, v57
	;; [unrolled: 1-line block ×3, first 2 shown]
	v_add_f16_e32 v47, v4, v47
	v_add_f16_e32 v32, v32, v34
	v_fmamk_f16 v34, v14, 0x2fb7, v76
	v_add_f16_e32 v82, v0, v82
	v_mul_f16_e32 v68, 0xb94e, v41
	v_mul_f16_e32 v70, 0xb5ac, v37
	;; [unrolled: 1-line block ×6, first 2 shown]
	v_fmamk_f16 v85, v15, 0xbbf1, v66
	v_add_f16_e32 v84, v4, v84
	v_add_f16_e32 v47, v47, v58
	v_fmamk_f16 v58, v13, 0xbbc4, v77
	v_add_f16_e32 v82, v82, v83
	v_fmamk_f16 v83, v16, 0x3a95, v78
	v_add_f16_e32 v34, v0, v34
	v_sub_f16_e32 v8, v61, v19
	v_add_f16_e32 v12, v19, v61
	v_mul_f16_e32 v69, 0x3bf1, v42
	v_mul_f16_e32 v71, 0xb9fd, v38
	;; [unrolled: 1-line block ×6, first 2 shown]
	v_fmamk_f16 v88, v16, 0x3b7b, v70
	v_add_f16_e32 v46, v46, v61
	v_fmamk_f16 v61, v14, 0xb5ac, v72
	v_add_f16_e32 v84, v84, v85
	;; [unrolled: 2-line block ×3, first 2 shown]
	v_add_f16_e32 v34, v34, v58
	v_fmamk_f16 v58, v14, 0x3b15, v41
	v_fmac_f16_e32 v70, 0xbb7b, v16
	v_mul_f16_e32 v59, 0xb94e, v43
	v_mul_f16_e32 v75, 0xbbc4, v38
	;; [unrolled: 1-line block ×3, first 2 shown]
	v_fmamk_f16 v89, v15, 0xb94e, v71
	v_fmamk_f16 v90, v13, 0xb9fd, v73
	;; [unrolled: 1-line block ×3, first 2 shown]
	v_add_f16_e32 v61, v0, v61
	v_add_f16_e32 v83, v83, v85
	v_fmamk_f16 v85, v13, 0x388b, v42
	v_add_f16_e32 v58, v0, v58
	v_fmac_f16_e32 v48, 0xb3a8, v16
	v_fmac_f16_e32 v71, 0x394e, v15
	v_add_f16_e32 v70, v4, v70
	v_sub_f16_e32 v7, v64, v21
	v_add_f16_e32 v11, v21, v64
	v_mul_f16_e32 v38, 0x388b, v38
	v_fmamk_f16 v86, v14, 0xb9fd, v68
	v_add_f16_e32 v46, v46, v64
	v_fmamk_f16 v64, v15, 0x33a8, v75
	v_add_f16_e32 v88, v4, v88
	v_add_f16_e32 v33, v4, v33
	;; [unrolled: 1-line block ×3, first 2 shown]
	v_fmamk_f16 v90, v16, 0x3770, v37
	v_add_f16_e32 v58, v58, v85
	v_mul_f16_e32 v85, 0x3b15, v39
	v_fma_f16 v56, v14, 0xbbc4, -v56
	v_fmac_f16_e32 v51, 0x3770, v15
	v_add_f16_e32 v48, v4, v48
	v_fma_f16 v68, v14, 0xb9fd, -v68
	v_add_f16_e32 v70, v70, v71
	v_fmamk_f16 v71, v12, 0xb9fd, v59
	v_mul_f16_e32 v52, 0xb9fd, v39
	v_fmamk_f16 v87, v13, 0x2fb7, v69
	v_add_f16_e32 v88, v88, v89
	v_add_f16_e32 v33, v33, v64
	v_fmamk_f16 v64, v15, 0x3a95, v38
	v_add_f16_e32 v90, v4, v90
	v_fma_f16 v57, v13, 0x3b15, -v57
	v_add_f16_e32 v56, v0, v56
	v_add_f16_e32 v48, v48, v51
	v_mul_f16_e32 v51, 0x3b7b, v43
	v_fma_f16 v69, v13, 0x2fb7, -v69
	v_add_f16_e32 v68, v0, v68
	v_add_f16_e32 v71, v82, v71
	v_fmamk_f16 v82, v8, 0xb770, v85
	v_add_f16_e32 v31, v27, v35
	v_sub_f16_e32 v45, v35, v27
	v_mul_f16_e32 v67, 0x388b, v39
	v_add_f16_e32 v64, v90, v64
	v_mul_f16_e32 v90, 0xba95, v43
	v_add_f16_e32 v32, v32, v35
	;; [unrolled: 2-line block ×3, first 2 shown]
	v_mul_f16_e32 v57, 0xbbc4, v39
	v_mul_f16_e32 v39, 0x2fb7, v39
	v_add_f16_e32 v68, v68, v69
	v_fmamk_f16 v69, v8, 0x394e, v52
	v_add_f16_e32 v82, v88, v82
	v_fmamk_f16 v88, v12, 0xb5ac, v51
	v_mul_f16_e32 v53, 0x388b, v40
	v_add_f16_e32 v86, v0, v86
	v_fmac_f16_e32 v65, 0xb94e, v16
	v_fma_f16 v72, v14, 0xb5ac, -v72
	v_add_f16_e32 v47, v47, v69
	v_fmamk_f16 v69, v12, 0x388b, v90
	v_add_f16_e32 v34, v34, v88
	v_fmamk_f16 v88, v8, 0x3bf1, v39
	v_fma_f16 v90, v12, 0x388b, -v90
	v_add_f16_e32 v86, v86, v87
	v_fmamk_f16 v87, v14, 0x388b, v80
	v_fmac_f16_e32 v66, 0x3bf1, v15
	v_add_f16_e32 v65, v4, v65
	v_fma_f16 v73, v13, 0xb9fd, -v73
	v_add_f16_e32 v72, v0, v72
	v_add_f16_e32 v64, v64, v88
	v_mul_f16_e32 v88, 0x33a8, v44
	v_add_f16_e32 v68, v68, v90
	v_fmamk_f16 v90, v7, 0xba95, v53
	v_sub_f16_e32 v2, v49, v25
	v_add_f16_e32 v26, v30, v36
	v_add_f16_e32 v10, v25, v49
	v_sub_f16_e32 v28, v36, v30
	v_fmamk_f16 v89, v13, 0xb5ac, v81
	v_add_f16_e32 v87, v0, v87
	v_add_f16_e32 v46, v46, v49
	v_mul_f16_e32 v49, 0x3770, v43
	v_add_f16_e32 v65, v65, v66
	v_mul_f16_e32 v66, 0xb3a8, v43
	v_add_f16_e32 v72, v72, v73
	v_fmamk_f16 v73, v8, 0x3a95, v67
	v_add_f16_e32 v69, v86, v69
	v_fmamk_f16 v86, v8, 0xbb7b, v35
	v_add_f16_e32 v32, v32, v36
	v_mul_f16_e32 v36, 0x3b15, v40
	v_fmac_f16_e32 v67, 0xba95, v8
	v_add_f16_e32 v47, v47, v90
	v_fmamk_f16 v90, v11, 0xbbc4, v88
	v_add_f16_e32 v87, v87, v89
	v_mul_f16_e32 v89, 0xbbc4, v40
	v_add_f16_e32 v73, v84, v73
	v_fmamk_f16 v84, v12, 0x3b15, v49
	v_add_f16_e32 v33, v33, v86
	v_fmamk_f16 v86, v12, 0xbbc4, v66
	v_add_f16_e32 v65, v65, v67
	v_mul_f16_e32 v67, 0x394e, v44
	v_fma_f16 v49, v12, 0x3b15, -v49
	v_add_f16_e32 v69, v69, v90
	v_fmamk_f16 v90, v7, 0xb770, v36
	v_mul_f16_e32 v54, 0xb5ac, v31
	v_add_f16_e32 v86, v87, v86
	v_add_f16_e32 v49, v72, v49
	v_fmamk_f16 v72, v7, 0xb3a8, v89
	v_add_f16_e32 v33, v33, v90
	v_fmamk_f16 v90, v11, 0xb9fd, v67
	v_fmac_f16_e32 v89, 0x33a8, v7
	v_sub_f16_e32 v1, v50, v29
	v_add_f16_e32 v9, v29, v50
	v_mul_f16_e32 v60, 0x3a95, v44
	v_mul_f16_e32 v43, 0xbbf1, v43
	v_add_f16_e32 v61, v61, v84
	v_fmamk_f16 v84, v8, 0x33a8, v57
	v_add_f16_e32 v46, v46, v50
	v_mul_f16_e32 v50, 0xbbf1, v44
	v_fma_f16 v59, v12, 0xb9fd, -v59
	v_fmac_f16_e32 v85, 0x3770, v8
	v_add_f16_e32 v86, v86, v90
	v_mul_f16_e32 v90, 0x3770, v45
	v_add_f16_e32 v65, v65, v89
	v_fmamk_f16 v89, v2, 0x3b7b, v54
	v_add_f16_e32 v83, v83, v84
	v_fmamk_f16 v84, v12, 0x2fb7, v43
	v_fmac_f16_e32 v52, 0xb94e, v8
	v_add_f16_e32 v56, v56, v59
	v_mul_f16_e32 v59, 0xb9fd, v40
	v_add_f16_e32 v70, v70, v85
	v_fmamk_f16 v85, v11, 0x388b, v60
	v_add_f16_e32 v72, v73, v72
	v_fmamk_f16 v73, v11, 0x2fb7, v50
	v_add_f16_e32 v29, v29, v46
	v_mul_f16_e32 v46, 0x388b, v31
	v_fma_f16 v60, v11, 0x388b, -v60
	v_add_f16_e32 v30, v30, v32
	v_add_f16_e32 v47, v47, v89
	v_fmamk_f16 v89, v10, 0x3b15, v90
	v_mul_f16_e32 v62, 0xbb7b, v45
	v_add_f16_e32 v58, v58, v84
	v_mul_f16_e32 v84, 0x2fb7, v40
	v_add_f16_e32 v48, v48, v52
	v_mul_f16_e32 v52, 0x3770, v44
	v_mul_f16_e32 v44, 0xbb7b, v44
	v_add_f16_e32 v61, v61, v73
	v_fmamk_f16 v73, v7, 0xb94e, v59
	v_fmac_f16_e32 v53, 0x3a95, v7
	v_add_f16_e32 v56, v56, v60
	v_mul_f16_e32 v60, 0x3bf1, v45
	v_fma_f16 v88, v11, 0xbbc4, -v88
	v_add_f16_e32 v69, v69, v89
	v_fmamk_f16 v89, v2, 0x3a95, v46
	v_add_f16_e32 v25, v25, v29
	v_add_f16_e32 v27, v27, v30
	v_mul_f16_e32 v55, 0x2fb7, v26
	v_mul_f16_e32 v87, 0x3b15, v31
	v_add_f16_e32 v71, v71, v85
	v_fmamk_f16 v85, v7, 0x3bf1, v84
	v_add_f16_e32 v73, v83, v73
	v_fmamk_f16 v83, v11, 0xb5ac, v44
	v_add_f16_e32 v48, v48, v53
	v_fmac_f16_e32 v84, 0xbbf1, v7
	v_add_f16_e32 v68, v68, v88
	v_fmamk_f16 v88, v10, 0xb5ac, v62
	v_add_f16_e32 v33, v33, v89
	v_fmamk_f16 v89, v10, 0x2fb7, v60
	v_fmac_f16_e32 v54, 0xbb7b, v2
	v_fma_f16 v62, v10, 0xb5ac, -v62
	v_add_f16_e32 v21, v21, v25
	v_add_f16_e32 v24, v24, v27
	;; [unrolled: 1-line block ×3, first 2 shown]
	v_mul_f16_e32 v83, 0x33a8, v45
	v_add_f16_e32 v70, v70, v84
	v_fmamk_f16 v84, v2, 0xb770, v87
	v_add_f16_e32 v86, v86, v89
	v_mul_f16_e32 v89, 0xb5ac, v26
	v_add_f16_e32 v48, v48, v54
	v_fma_f16 v90, v10, 0x3b15, -v90
	v_add_f16_e32 v56, v56, v62
	v_fmamk_f16 v62, v1, 0xbbf1, v55
	v_fmac_f16_e32 v55, 0x3bf1, v1
	v_fma_f16 v50, v11, 0x2fb7, -v50
	v_add_f16_e32 v19, v19, v21
	v_add_f16_e32 v21, v23, v24
	v_mul_f16_e32 v40, 0xb5ac, v40
	v_add_f16_e32 v82, v82, v85
	v_fmamk_f16 v85, v11, 0x3b15, v52
	v_mul_f16_e32 v53, 0x2fb7, v31
	v_add_f16_e32 v72, v72, v84
	v_fmamk_f16 v84, v10, 0xbbc4, v83
	;; [unrolled: 3-line block ×3, first 2 shown]
	v_add_f16_e32 v18, v18, v19
	v_add_f16_e32 v19, v22, v21
	;; [unrolled: 1-line block ×4, first 2 shown]
	v_fma_f16 v49, v10, 0xbbc4, -v83
	v_fmac_f16_e32 v74, 0xbbf1, v16
	v_fma_f16 v50, v14, 0x2fb7, -v76
	v_add_f16_e32 v34, v34, v85
	v_fmamk_f16 v85, v7, 0x3b7b, v40
	v_mul_f16_e32 v32, 0xba95, v45
	v_mul_f16_e32 v45, 0xb94e, v45
	v_add_f16_e32 v61, v61, v84
	v_fmamk_f16 v84, v2, 0xbbf1, v53
	v_add_f16_e32 v72, v72, v90
	v_fmamk_f16 v90, v9, 0x388b, v29
	v_add_f16_e32 v48, v48, v49
	v_fma_f16 v29, v9, 0x388b, -v29
	v_add_f16_e32 v49, v4, v74
	v_fmac_f16_e32 v75, 0xb3a8, v15
	v_add_f16_e32 v50, v0, v50
	v_fma_f16 v55, v13, 0xbbc4, -v77
	v_fmac_f16_e32 v78, 0xba95, v16
	v_mul_f16_e32 v63, 0x3bf1, v28
	v_add_f16_e32 v64, v64, v85
	v_mul_f16_e32 v85, 0xbbc4, v31
	v_add_f16_e32 v73, v73, v84
	v_fmamk_f16 v84, v10, 0xb9fd, v45
	v_fmac_f16_e32 v87, 0x3770, v2
	v_add_f16_e32 v29, v48, v29
	v_add_f16_e32 v48, v49, v75
	v_fmac_f16_e32 v35, 0x3b7b, v8
	v_add_f16_e32 v49, v50, v55
	v_fma_f16 v50, v12, 0xb5ac, -v51
	v_add_f16_e32 v51, v4, v78
	v_fmac_f16_e32 v79, 0xbb7b, v15
	v_add_f16_e32 v71, v71, v88
	v_fmamk_f16 v88, v2, 0xb3a8, v85
	v_add_f16_e32 v58, v58, v84
	v_mul_f16_e32 v84, 0x388b, v26
	v_add_f16_e32 v65, v65, v87
	v_fmamk_f16 v87, v9, 0x2fb7, v63
	v_add_f16_e32 v35, v48, v35
	v_fmac_f16_e32 v36, 0x3770, v7
	v_add_f16_e32 v48, v49, v50
	v_fma_f16 v49, v11, 0x3b15, -v52
	v_add_f16_e32 v50, v51, v79
	v_fmac_f16_e32 v57, 0xb3a8, v8
	v_mul_f16_e32 v31, 0xb9fd, v31
	v_add_f16_e32 v82, v82, v88
	v_fmamk_f16 v88, v10, 0x388b, v32
	v_mul_f16_e32 v30, 0xb9fd, v26
	v_add_f16_e32 v71, v71, v87
	v_fmamk_f16 v87, v1, 0xba95, v84
	v_add_f16_e32 v35, v35, v36
	v_fmac_f16_e32 v46, 0xba95, v2
	v_add_f16_e32 v36, v48, v49
	v_add_f16_e32 v48, v50, v57
	v_fmac_f16_e32 v59, 0x394e, v7
	v_fmac_f16_e32 v37, 0xb770, v16
	v_add_f16_e32 v34, v34, v88
	v_fmamk_f16 v88, v2, 0x394e, v31
	v_add_f16_e32 v82, v82, v87
	v_fmamk_f16 v87, v1, 0x394e, v30
	v_add_f16_e32 v35, v35, v46
	v_fmac_f16_e32 v30, 0xb94e, v1
	v_add_f16_e32 v46, v48, v59
	v_fma_f16 v48, v14, 0x388b, -v80
	v_add_f16_e32 v4, v4, v37
	v_fmac_f16_e32 v38, 0xba95, v15
	v_fma_f16 v14, v14, 0x3b15, -v41
	v_mul_f16_e32 v54, 0xb94e, v28
	v_fma_f16 v32, v10, 0x388b, -v32
	v_add_f16_e32 v64, v64, v88
	v_mul_f16_e32 v88, 0xbb7b, v28
	v_add_f16_e32 v30, v35, v30
	v_add_f16_e32 v35, v0, v48
	;; [unrolled: 1-line block ×3, first 2 shown]
	v_fmac_f16_e32 v39, 0xbbf1, v8
	v_add_f16_e32 v0, v0, v14
	v_fma_f16 v8, v13, 0x388b, -v42
	v_add_f16_e32 v32, v36, v32
	v_fma_f16 v36, v9, 0xb9fd, -v54
	v_add_f16_e32 v47, v47, v62
	v_fmamk_f16 v62, v9, 0xb5ac, v88
	v_add_f16_e32 v4, v4, v39
	v_fmac_f16_e32 v40, 0xbb7b, v7
	v_add_f16_e32 v0, v0, v8
	v_fma_f16 v7, v12, 0x2fb7, -v43
	v_add_f16_e32 v16, v32, v36
	v_fma_f16 v36, v13, 0xb5ac, -v81
	v_add_f16_e32 v61, v61, v90
	v_fmamk_f16 v90, v9, 0xb9fd, v54
	v_add_f16_e32 v62, v69, v62
	v_mul_f16_e32 v69, 0x3b15, v26
	v_mul_f16_e32 v26, 0xbbc4, v26
	v_fmac_f16_e32 v85, 0x33a8, v2
	v_fmac_f16_e32 v53, 0x3bf1, v2
	v_add_f16_e32 v4, v4, v40
	v_fmac_f16_e32 v31, 0xb94e, v2
	v_add_f16_e32 v0, v0, v7
	v_fma_f16 v2, v11, 0xb5ac, -v44
	v_add_f16_e32 v15, v35, v36
	v_fma_f16 v35, v12, 0xbbc4, -v66
	v_add_f16_e32 v34, v34, v90
	v_mul_f16_e32 v90, 0x3770, v28
	v_mul_f16_e32 v28, 0xb3a8, v28
	v_add_f16_e32 v33, v33, v87
	v_fmamk_f16 v87, v1, 0xb770, v69
	v_fmamk_f16 v25, v1, 0x33a8, v26
	v_fmac_f16_e32 v89, 0xbb7b, v1
	v_fmac_f16_e32 v84, 0x3a95, v1
	;; [unrolled: 1-line block ×3, first 2 shown]
	v_fma_f16 v14, v11, 0xb9fd, -v67
	v_add_f16_e32 v11, v4, v31
	v_mov_b32_e32 v4, 0
	v_fmac_f16_e32 v26, 0xb3a8, v1
	v_add_f16_e32 v0, v0, v2
	v_fma_f16 v1, v10, 0xb9fd, -v45
	v_add_f16_e32 v13, v15, v35
	v_fmamk_f16 v27, v9, 0xbbc4, v28
	v_add_f16_e32 v73, v73, v87
	v_fmamk_f16 v87, v9, 0x3b15, v90
	v_fma_f16 v12, v10, 0x2fb7, -v60
	v_add_f16_e32 v10, v0, v1
	v_lshlrev_b64_e32 v[0:1], 2, v[3:4]
	v_add_f16_e32 v8, v13, v14
	v_add_co_u32 v3, vcc_lo, s8, v5
	v_fma_f16 v63, v9, 0x2fb7, -v63
	v_add_f16_e32 v17, v17, v18
	v_add_f16_e32 v18, v20, v19
	v_fma_f16 v19, v9, 0xb5ac, -v88
	s_wait_alu 0xfffd
	v_add_co_ci_u32_e32 v4, vcc_lo, s9, v6, vcc_lo
	v_add_f16_e32 v24, v64, v25
	v_add_f16_e32 v25, v58, v27
	;; [unrolled: 1-line block ×6, first 2 shown]
	v_fma_f16 v8, v9, 0x3b15, -v90
	v_fma_f16 v9, v9, 0xbbc4, -v28
	v_add_co_u32 v0, vcc_lo, v3, v0
	v_add_f16_e32 v22, v56, v63
	v_add_f16_e32 v27, v65, v89
	;; [unrolled: 1-line block ×3, first 2 shown]
	s_wait_alu 0xfffd
	v_add_co_ci_u32_e32 v1, vcc_lo, v4, v1, vcc_lo
	v_pack_b32_f16 v3, v17, v18
	v_add_f16_e32 v20, v20, v84
	v_pack_b32_f16 v4, v25, v24
	v_pack_b32_f16 v6, v23, v73
	v_add_f16_e32 v2, v32, v69
	v_add_f16_e32 v7, v7, v8
	;; [unrolled: 1-line block ×3, first 2 shown]
	v_pack_b32_f16 v9, v34, v33
	v_add_f16_e32 v8, v11, v26
	v_pack_b32_f16 v10, v61, v82
	v_pack_b32_f16 v11, v62, v72
	;; [unrolled: 1-line block ×4, first 2 shown]
	s_clause 0x7
	global_store_b32 v[0:1], v3, off
	global_store_b32 v[0:1], v4, off offset:572
	global_store_b32 v[0:1], v6, off offset:1144
	;; [unrolled: 1-line block ×7, first 2 shown]
	v_pack_b32_f16 v3, v19, v27
	v_pack_b32_f16 v4, v29, v20
	;; [unrolled: 1-line block ×5, first 2 shown]
	s_clause 0x4
	global_store_b32 v[0:1], v3, off offset:4576
	global_store_b32 v[0:1], v4, off offset:5148
	;; [unrolled: 1-line block ×5, first 2 shown]
	s_nop 0
	s_sendmsg sendmsg(MSG_DEALLOC_VGPRS)
	s_endpgm
	.section	.rodata,"a",@progbits
	.p2align	6, 0x0
	.amdhsa_kernel fft_rtc_back_len1859_factors_13_11_13_wgs_169_tpt_169_halfLds_half_ip_CI_unitstride_sbrr_dirReg
		.amdhsa_group_segment_fixed_size 0
		.amdhsa_private_segment_fixed_size 0
		.amdhsa_kernarg_size 88
		.amdhsa_user_sgpr_count 2
		.amdhsa_user_sgpr_dispatch_ptr 0
		.amdhsa_user_sgpr_queue_ptr 0
		.amdhsa_user_sgpr_kernarg_segment_ptr 1
		.amdhsa_user_sgpr_dispatch_id 0
		.amdhsa_user_sgpr_private_segment_size 0
		.amdhsa_wavefront_size32 1
		.amdhsa_uses_dynamic_stack 0
		.amdhsa_enable_private_segment 0
		.amdhsa_system_sgpr_workgroup_id_x 1
		.amdhsa_system_sgpr_workgroup_id_y 0
		.amdhsa_system_sgpr_workgroup_id_z 0
		.amdhsa_system_sgpr_workgroup_info 0
		.amdhsa_system_vgpr_workitem_id 0
		.amdhsa_next_free_vgpr 91
		.amdhsa_next_free_sgpr 32
		.amdhsa_reserve_vcc 1
		.amdhsa_float_round_mode_32 0
		.amdhsa_float_round_mode_16_64 0
		.amdhsa_float_denorm_mode_32 3
		.amdhsa_float_denorm_mode_16_64 3
		.amdhsa_fp16_overflow 0
		.amdhsa_workgroup_processor_mode 1
		.amdhsa_memory_ordered 1
		.amdhsa_forward_progress 0
		.amdhsa_round_robin_scheduling 0
		.amdhsa_exception_fp_ieee_invalid_op 0
		.amdhsa_exception_fp_denorm_src 0
		.amdhsa_exception_fp_ieee_div_zero 0
		.amdhsa_exception_fp_ieee_overflow 0
		.amdhsa_exception_fp_ieee_underflow 0
		.amdhsa_exception_fp_ieee_inexact 0
		.amdhsa_exception_int_div_zero 0
	.end_amdhsa_kernel
	.text
.Lfunc_end0:
	.size	fft_rtc_back_len1859_factors_13_11_13_wgs_169_tpt_169_halfLds_half_ip_CI_unitstride_sbrr_dirReg, .Lfunc_end0-fft_rtc_back_len1859_factors_13_11_13_wgs_169_tpt_169_halfLds_half_ip_CI_unitstride_sbrr_dirReg
                                        ; -- End function
	.section	.AMDGPU.csdata,"",@progbits
; Kernel info:
; codeLenInByte = 11348
; NumSgprs: 34
; NumVgprs: 91
; ScratchSize: 0
; MemoryBound: 0
; FloatMode: 240
; IeeeMode: 1
; LDSByteSize: 0 bytes/workgroup (compile time only)
; SGPRBlocks: 4
; VGPRBlocks: 11
; NumSGPRsForWavesPerEU: 34
; NumVGPRsForWavesPerEU: 91
; Occupancy: 15
; WaveLimiterHint : 1
; COMPUTE_PGM_RSRC2:SCRATCH_EN: 0
; COMPUTE_PGM_RSRC2:USER_SGPR: 2
; COMPUTE_PGM_RSRC2:TRAP_HANDLER: 0
; COMPUTE_PGM_RSRC2:TGID_X_EN: 1
; COMPUTE_PGM_RSRC2:TGID_Y_EN: 0
; COMPUTE_PGM_RSRC2:TGID_Z_EN: 0
; COMPUTE_PGM_RSRC2:TIDIG_COMP_CNT: 0
	.text
	.p2alignl 7, 3214868480
	.fill 96, 4, 3214868480
	.type	__hip_cuid_49a3ccba0e551abd,@object ; @__hip_cuid_49a3ccba0e551abd
	.section	.bss,"aw",@nobits
	.globl	__hip_cuid_49a3ccba0e551abd
__hip_cuid_49a3ccba0e551abd:
	.byte	0                               ; 0x0
	.size	__hip_cuid_49a3ccba0e551abd, 1

	.ident	"AMD clang version 19.0.0git (https://github.com/RadeonOpenCompute/llvm-project roc-6.4.0 25133 c7fe45cf4b819c5991fe208aaa96edf142730f1d)"
	.section	".note.GNU-stack","",@progbits
	.addrsig
	.addrsig_sym __hip_cuid_49a3ccba0e551abd
	.amdgpu_metadata
---
amdhsa.kernels:
  - .args:
      - .actual_access:  read_only
        .address_space:  global
        .offset:         0
        .size:           8
        .value_kind:     global_buffer
      - .offset:         8
        .size:           8
        .value_kind:     by_value
      - .actual_access:  read_only
        .address_space:  global
        .offset:         16
        .size:           8
        .value_kind:     global_buffer
      - .actual_access:  read_only
        .address_space:  global
        .offset:         24
        .size:           8
        .value_kind:     global_buffer
      - .offset:         32
        .size:           8
        .value_kind:     by_value
      - .actual_access:  read_only
        .address_space:  global
        .offset:         40
        .size:           8
        .value_kind:     global_buffer
      - .actual_access:  read_only
        .address_space:  global
        .offset:         48
        .size:           8
        .value_kind:     global_buffer
      - .offset:         56
        .size:           4
        .value_kind:     by_value
      - .actual_access:  read_only
        .address_space:  global
        .offset:         64
        .size:           8
        .value_kind:     global_buffer
      - .actual_access:  read_only
        .address_space:  global
        .offset:         72
        .size:           8
        .value_kind:     global_buffer
      - .address_space:  global
        .offset:         80
        .size:           8
        .value_kind:     global_buffer
    .group_segment_fixed_size: 0
    .kernarg_segment_align: 8
    .kernarg_segment_size: 88
    .language:       OpenCL C
    .language_version:
      - 2
      - 0
    .max_flat_workgroup_size: 169
    .name:           fft_rtc_back_len1859_factors_13_11_13_wgs_169_tpt_169_halfLds_half_ip_CI_unitstride_sbrr_dirReg
    .private_segment_fixed_size: 0
    .sgpr_count:     34
    .sgpr_spill_count: 0
    .symbol:         fft_rtc_back_len1859_factors_13_11_13_wgs_169_tpt_169_halfLds_half_ip_CI_unitstride_sbrr_dirReg.kd
    .uniform_work_group_size: 1
    .uses_dynamic_stack: false
    .vgpr_count:     91
    .vgpr_spill_count: 0
    .wavefront_size: 32
    .workgroup_processor_mode: 1
amdhsa.target:   amdgcn-amd-amdhsa--gfx1201
amdhsa.version:
  - 1
  - 2
...

	.end_amdgpu_metadata
